;; amdgpu-corpus repo=ROCm/rocFFT kind=compiled arch=gfx1100 opt=O3
	.text
	.amdgcn_target "amdgcn-amd-amdhsa--gfx1100"
	.amdhsa_code_object_version 6
	.protected	bluestein_single_fwd_len1260_dim1_dp_op_CI_CI ; -- Begin function bluestein_single_fwd_len1260_dim1_dp_op_CI_CI
	.globl	bluestein_single_fwd_len1260_dim1_dp_op_CI_CI
	.p2align	8
	.type	bluestein_single_fwd_len1260_dim1_dp_op_CI_CI,@function
bluestein_single_fwd_len1260_dim1_dp_op_CI_CI: ; @bluestein_single_fwd_len1260_dim1_dp_op_CI_CI
; %bb.0:
	s_load_b128 s[16:19], s[0:1], 0x28
	v_mul_u32_u24_e32 v1, 0x411, v0
	s_mov_b32 s2, exec_lo
	v_mov_b32_e32 v11, 0
	s_delay_alu instid0(VALU_DEP_2) | instskip(NEXT) | instid1(VALU_DEP_1)
	v_lshrrev_b32_e32 v1, 16, v1
	v_add_nc_u32_e32 v10, s15, v1
	s_waitcnt lgkmcnt(0)
	s_delay_alu instid0(VALU_DEP_1)
	v_cmpx_gt_u64_e64 s[16:17], v[10:11]
	s_cbranch_execz .LBB0_26
; %bb.1:
	s_clause 0x1
	s_load_b128 s[4:7], s[0:1], 0x18
	s_load_b128 s[8:11], s[0:1], 0x0
	v_mul_lo_u16 v1, v1, 63
	s_delay_alu instid0(VALU_DEP_1) | instskip(NEXT) | instid1(VALU_DEP_1)
	v_sub_nc_u16 v56, v0, v1
	v_and_b32_e32 v173, 0xffff, v56
	s_delay_alu instid0(VALU_DEP_1)
	v_lshlrev_b32_e32 v172, 4, v173
	s_waitcnt lgkmcnt(0)
	s_load_b128 s[12:15], s[4:5], 0x0
	s_clause 0x4
	global_load_b128 v[113:116], v172, s[8:9]
	global_load_b128 v[157:160], v172, s[8:9] offset:1008
	global_load_b128 v[165:168], v172, s[8:9] offset:2016
	;; [unrolled: 1-line block ×4, first 2 shown]
	v_add_co_u32 v8, s2, s8, v172
	s_delay_alu instid0(VALU_DEP_1) | instskip(NEXT) | instid1(VALU_DEP_2)
	v_add_co_ci_u32_e64 v9, null, s9, 0, s2
	v_add_co_u32 v73, vcc_lo, 0x2000, v8
	s_delay_alu instid0(VALU_DEP_2)
	v_add_co_ci_u32_e32 v74, vcc_lo, 0, v9, vcc_lo
	v_add_co_u32 v0, vcc_lo, 0x3000, v8
	v_add_co_ci_u32_e32 v1, vcc_lo, 0, v9, vcc_lo
	v_add_co_u32 v2, vcc_lo, 0x1000, v8
	v_add_co_ci_u32_e32 v3, vcc_lo, 0, v9, vcc_lo
	s_waitcnt lgkmcnt(0)
	v_mad_u64_u32 v[4:5], null, s14, v10, 0
	v_add_co_u32 v77, vcc_lo, 0x4000, v8
	v_mov_b32_e32 v8, v10
	v_mad_u64_u32 v[6:7], null, s12, v173, 0
	v_add_co_ci_u32_e32 v78, vcc_lo, 0, v9, vcc_lo
	s_clause 0x2
	global_load_b128 v[234:237], v[73:74], off offset:1888
	global_load_b128 v[230:233], v[73:74], off offset:2896
	global_load_b128 v[218:221], v[73:74], off offset:3904
	scratch_store_b64 off, v[8:9], off      ; 8-byte Folded Spill
	s_clause 0x5
	global_load_b128 v[214:217], v[0:1], off offset:816
	global_load_b128 v[194:197], v[0:1], off offset:1824
	;; [unrolled: 1-line block ×6, first 2 shown]
	v_mad_u64_u32 v[8:9], null, s15, v10, v[5:6]
	s_mul_i32 s2, s13, 0x2760
	s_mul_hi_u32 s3, s12, 0x2760
	s_mul_i32 s4, s12, 0x2760
	s_add_i32 s3, s3, s2
	s_mul_i32 s5, s13, 0xffffdc90
	s_mul_i32 s14, s12, 0xffffdc90
	s_delay_alu instid0(VALU_DEP_1)
	v_mov_b32_e32 v5, v8
	v_mad_u64_u32 v[9:10], null, s13, v173, v[7:8]
	s_mul_hi_u32 s13, s12, 0xffffdc90
	s_clause 0x1
	global_load_b128 v[198:201], v[2:3], off offset:2960
	global_load_b128 v[202:205], v[2:3], off offset:3968
	v_lshlrev_b64 v[0:1], 4, v[4:5]
	s_sub_i32 s2, s13, s12
	s_clause 0x1
	global_load_b128 v[206:209], v[77:78], off offset:752
	global_load_b128 v[210:213], v[77:78], off offset:1760
	s_add_i32 s2, s2, s5
	v_mov_b32_e32 v7, v9
	v_add_co_u32 v0, vcc_lo, s18, v0
	v_add_co_ci_u32_e32 v1, vcc_lo, s19, v1, vcc_lo
	s_delay_alu instid0(VALU_DEP_3) | instskip(NEXT) | instid1(VALU_DEP_1)
	v_lshlrev_b64 v[4:5], 4, v[6:7]
	v_add_co_u32 v0, vcc_lo, v0, v4
	s_delay_alu instid0(VALU_DEP_2) | instskip(NEXT) | instid1(VALU_DEP_2)
	v_add_co_ci_u32_e32 v1, vcc_lo, v1, v5, vcc_lo
	v_add_co_u32 v4, vcc_lo, v0, s4
	s_delay_alu instid0(VALU_DEP_2) | instskip(NEXT) | instid1(VALU_DEP_2)
	v_add_co_ci_u32_e32 v5, vcc_lo, s3, v1, vcc_lo
	v_add_co_u32 v8, vcc_lo, v4, s14
	s_delay_alu instid0(VALU_DEP_2)
	v_add_co_ci_u32_e32 v9, vcc_lo, s2, v5, vcc_lo
	s_clause 0x1
	global_load_b128 v[0:3], v[0:1], off
	global_load_b128 v[4:7], v[4:5], off
	v_add_co_u32 v12, vcc_lo, v8, s4
	v_add_co_ci_u32_e32 v13, vcc_lo, s3, v9, vcc_lo
	s_delay_alu instid0(VALU_DEP_2) | instskip(NEXT) | instid1(VALU_DEP_2)
	v_add_co_u32 v16, vcc_lo, v12, s14
	v_add_co_ci_u32_e32 v17, vcc_lo, s2, v13, vcc_lo
	s_clause 0x1
	global_load_b128 v[8:11], v[8:9], off
	global_load_b128 v[12:15], v[12:13], off
	v_add_co_u32 v20, vcc_lo, v16, s4
	v_add_co_ci_u32_e32 v21, vcc_lo, s3, v17, vcc_lo
	global_load_b128 v[16:19], v[16:17], off
	v_add_co_u32 v24, vcc_lo, v20, s14
	v_add_co_ci_u32_e32 v25, vcc_lo, s2, v21, vcc_lo
	;; [unrolled: 3-line block ×14, first 2 shown]
	s_delay_alu instid0(VALU_DEP_2) | instskip(NEXT) | instid1(VALU_DEP_2)
	v_add_co_u32 v79, vcc_lo, v75, s4
	v_add_co_ci_u32_e32 v80, vcc_lo, s3, v76, vcc_lo
	global_load_b128 v[69:72], v[69:70], off
	global_load_b128 v[222:225], v[73:74], off offset:880
	global_load_b128 v[73:76], v[75:76], off
	global_load_b128 v[226:229], v[77:78], off offset:2768
	global_load_b128 v[77:80], v[79:80], off
	s_load_b128 s[4:7], s[6:7], 0x0
	v_cmp_gt_u16_e32 vcc_lo, 42, v56
	s_waitcnt vmcnt(39)
	scratch_store_b128 off, v[113:116], off offset:8 ; 16-byte Folded Spill
	s_waitcnt vmcnt(38)
	scratch_store_b128 off, v[157:160], off offset:24 ; 16-byte Folded Spill
	;; [unrolled: 2-line block ×12, first 2 shown]
	s_waitcnt vmcnt(26)
	s_clause 0x1
	scratch_store_b128 off, v[182:185], off offset:104
	scratch_store_b128 off, v[178:181], off offset:88
	s_waitcnt vmcnt(25)
	scratch_store_b128 off, v[198:201], off offset:168 ; 16-byte Folded Spill
	s_waitcnt vmcnt(24)
	scratch_store_b128 off, v[202:205], off offset:184 ; 16-byte Folded Spill
	;; [unrolled: 2-line block ×4, first 2 shown]
	s_waitcnt vmcnt(21)
	v_mul_f64 v[81:82], v[2:3], v[115:116]
	v_mul_f64 v[83:84], v[0:1], v[115:116]
	s_waitcnt vmcnt(20)
	v_mul_f64 v[85:86], v[6:7], v[236:237]
	v_mul_f64 v[87:88], v[4:5], v[236:237]
	;; [unrolled: 3-line block ×8, first 2 shown]
	v_fma_f64 v[0:1], v[0:1], v[113:114], v[81:82]
	v_fma_f64 v[2:3], v[2:3], v[113:114], -v[83:84]
	s_waitcnt vmcnt(13)
	v_mul_f64 v[81:82], v[34:35], v[176:177]
	v_mul_f64 v[83:84], v[32:33], v[176:177]
	s_waitcnt vmcnt(12)
	v_mul_f64 v[113:114], v[38:39], v[196:197]
	v_mul_f64 v[115:116], v[36:37], v[196:197]
	v_fma_f64 v[4:5], v[4:5], v[234:235], v[85:86]
	v_fma_f64 v[6:7], v[6:7], v[234:235], -v[87:88]
	s_waitcnt vmcnt(11)
	v_mul_f64 v[117:118], v[42:43], v[192:193]
	v_mul_f64 v[119:120], v[40:41], v[192:193]
	v_fma_f64 v[8:9], v[8:9], v[157:158], v[89:90]
	v_fma_f64 v[10:11], v[10:11], v[157:158], -v[91:92]
	v_fma_f64 v[12:13], v[12:13], v[230:231], v[93:94]
	s_waitcnt vmcnt(10)
	v_mul_f64 v[121:122], v[46:47], v[188:189]
	v_mul_f64 v[123:124], v[44:45], v[188:189]
	v_fma_f64 v[14:15], v[14:15], v[230:231], -v[95:96]
	v_fma_f64 v[16:17], v[16:17], v[165:166], v[97:98]
	v_fma_f64 v[18:19], v[18:19], v[165:166], -v[99:100]
	s_waitcnt vmcnt(9)
	v_mul_f64 v[125:126], v[50:51], v[180:181]
	v_mul_f64 v[127:128], v[48:49], v[180:181]
	v_add_co_u32 v92, s2, v173, 63
	v_fma_f64 v[20:21], v[20:21], v[218:219], v[101:102]
	s_waitcnt vmcnt(8)
	v_mul_f64 v[129:130], v[54:55], v[184:185]
	v_mul_f64 v[131:132], v[52:53], v[184:185]
	v_fma_f64 v[22:23], v[22:23], v[218:219], -v[103:104]
	v_fma_f64 v[24:25], v[24:25], v[161:162], v[105:106]
	v_fma_f64 v[26:27], v[26:27], v[161:162], -v[107:108]
	s_waitcnt vmcnt(7)
	v_mul_f64 v[133:134], v[59:60], v[200:201]
	v_mul_f64 v[135:136], v[57:58], v[200:201]
	v_add_co_u32 v93, null, 0x17a, v173
	v_fma_f64 v[28:29], v[28:29], v[214:215], v[109:110]
	s_waitcnt vmcnt(6)
	v_mul_f64 v[137:138], v[63:64], v[208:209]
	v_mul_f64 v[139:140], v[61:62], v[208:209]
	v_fma_f64 v[30:31], v[30:31], v[214:215], -v[111:112]
	v_lshlrev_b32_e32 v87, 5, v173
	v_lshlrev_b32_e32 v101, 5, v92
	s_waitcnt vmcnt(5)
	v_mul_f64 v[141:142], v[67:68], v[204:205]
	v_mul_f64 v[143:144], v[65:66], v[204:205]
	v_fma_f64 v[32:33], v[32:33], v[174:175], v[81:82]
	v_fma_f64 v[34:35], v[34:35], v[174:175], -v[83:84]
	v_fma_f64 v[36:37], v[36:37], v[194:195], v[113:114]
	v_fma_f64 v[38:39], v[38:39], v[194:195], -v[115:116]
	s_waitcnt vmcnt(4)
	v_mul_f64 v[145:146], v[71:72], v[212:213]
	v_mul_f64 v[147:148], v[69:70], v[212:213]
	s_waitcnt vmcnt(2)
	v_mul_f64 v[149:150], v[75:76], v[224:225]
	v_mul_f64 v[151:152], v[73:74], v[224:225]
	;; [unrolled: 3-line block ×3, first 2 shown]
	v_fma_f64 v[40:41], v[40:41], v[190:191], v[117:118]
	v_fma_f64 v[42:43], v[42:43], v[190:191], -v[119:120]
	v_fma_f64 v[44:45], v[44:45], v[186:187], v[121:122]
	v_fma_f64 v[46:47], v[46:47], v[186:187], -v[123:124]
	s_clause 0x1
	scratch_store_b128 off, v[222:225], off offset:264
	scratch_store_b128 off, v[226:229], off offset:280
	v_fma_f64 v[48:49], v[48:49], v[178:179], v[125:126]
	v_fma_f64 v[50:51], v[50:51], v[178:179], -v[127:128]
	v_add_co_ci_u32_e64 v81, null, 0, 0, s2
	v_add_co_u32 v124, s2, 0x7e, v173
	v_fma_f64 v[52:53], v[52:53], v[182:183], v[129:130]
	v_fma_f64 v[54:55], v[54:55], v[182:183], -v[131:132]
	v_add_co_ci_u32_e64 v81, null, 0, 0, s2
	v_fma_f64 v[57:58], v[57:58], v[198:199], v[133:134]
	v_fma_f64 v[59:60], v[59:60], v[198:199], -v[135:136]
	v_add_co_u32 v110, s2, 0xbd, v173
	v_lshlrev_b32_e32 v100, 5, v124
	v_fma_f64 v[61:62], v[61:62], v[206:207], v[137:138]
	v_fma_f64 v[63:64], v[63:64], v[206:207], -v[139:140]
	s_delay_alu instid0(VALU_DEP_4)
	v_and_b32_e32 v132, 1, v110
	v_lshlrev_b32_e32 v99, 5, v110
	v_lshlrev_b32_e32 v91, 5, v93
	v_fma_f64 v[65:66], v[65:66], v[202:203], v[141:142]
	v_fma_f64 v[67:68], v[67:68], v[202:203], -v[143:144]
	v_and_b32_e32 v134, 1, v92
	v_fma_f64 v[69:70], v[69:70], v[210:211], v[145:146]
	v_fma_f64 v[71:72], v[71:72], v[210:211], -v[147:148]
	v_fma_f64 v[73:74], v[73:74], v[222:223], v[149:150]
	v_fma_f64 v[75:76], v[75:76], v[222:223], -v[151:152]
	;; [unrolled: 2-line block ×3, first 2 shown]
	ds_store_b128 v172, v[0:3]
	ds_store_b128 v172, v[8:11] offset:1008
	ds_store_b128 v172, v[4:7] offset:10080
	;; [unrolled: 1-line block ×19, first 2 shown]
	s_waitcnt lgkmcnt(0)
	s_waitcnt_vscnt null, 0x0
	s_barrier
	buffer_gl0_inv
	ds_load_b128 v[0:3], v172
	ds_load_b128 v[4:7], v172 offset:1008
	ds_load_b128 v[28:31], v172 offset:10080
	;; [unrolled: 1-line block ×19, first 2 shown]
	s_waitcnt lgkmcnt(0)
	s_barrier
	v_add_f64 v[28:29], v[0:1], -v[28:29]
	v_add_f64 v[30:31], v[2:3], -v[30:31]
	;; [unrolled: 1-line block ×20, first 2 shown]
	v_add_co_ci_u32_e64 v40, null, 0, 0, s2
	v_add_co_u32 v95, s2, 0xfc, v173
	v_lshlrev_b32_e32 v42, 1, v173
	v_add_co_ci_u32_e64 v40, null, 0, 0, s2
	v_add_co_u32 v94, s2, 0x13b, v173
	s_delay_alu instid0(VALU_DEP_1)
	v_add_co_ci_u32_e64 v40, null, 0, 0, s2
	v_add_nc_u32_e32 v41, 0x237, v173
	v_add_nc_u32_e32 v40, 0x1b9, v173
	v_and_b32_e32 v55, 1, v173
	v_add_nc_u32_e32 v123, 0x3f0, v42
	v_and_b32_e32 v133, 1, v94
	v_and_b32_e32 v131, 1, v41
	v_lshlrev_b32_e32 v98, 5, v95
	v_fma_f64 v[0:1], v[0:1], 2.0, -v[28:29]
	v_fma_f64 v[2:3], v[2:3], 2.0, -v[30:31]
	;; [unrolled: 1-line block ×20, first 2 shown]
	v_lshlrev_b32_e32 v96, 5, v94
	v_lshlrev_b32_e32 v90, 5, v40
	;; [unrolled: 1-line block ×5, first 2 shown]
	buffer_gl0_inv
	ds_store_b128 v87, v[0:3]
	ds_store_b128 v87, v[28:31] offset:16
	ds_store_b128 v101, v[4:7]
	scratch_store_b32 off, v101, off offset:652 ; 4-byte Folded Spill
	ds_store_b128 v101, v[32:35] offset:16
	ds_store_b128 v100, v[8:11]
	scratch_store_b32 off, v100, off offset:644 ; 4-byte Folded Spill
	ds_store_b128 v100, v[81:84] offset:16
	ds_store_b128 v99, v[12:15]
	v_lshlrev_b32_e32 v0, 4, v132
	v_and_b32_e32 v83, 1, v40
	v_lshlrev_b32_e32 v85, 4, v42
	v_lshlrev_b32_e32 v88, 4, v131
	;; [unrolled: 1-line block ×3, first 2 shown]
	scratch_store_b32 off, v99, off offset:632 ; 4-byte Folded Spill
	ds_store_b128 v99, v[43:46] offset:16
	ds_store_b128 v98, v[16:19]
	scratch_store_b32 off, v98, off offset:628 ; 4-byte Folded Spill
	ds_store_b128 v98, v[47:50] offset:16
	ds_store_b128 v96, v[20:23]
	;; [unrolled: 3-line block ×3, first 2 shown]
	scratch_store_b32 off, v91, off offset:616 ; 4-byte Folded Spill
	ds_store_b128 v91, v[57:60] offset:16
	ds_store_b128 v87, v[36:39] offset:14112
	scratch_store_b32 off, v90, off offset:572 ; 4-byte Folded Spill
	ds_store_b128 v90, v[61:64] offset:16
	ds_store_b128 v85, v[65:68] offset:16128
	scratch_store_b32 off, v97, off offset:624 ; 4-byte Folded Spill
	ds_store_b128 v97, v[73:76] offset:16
	ds_store_b128 v87, v[69:72] offset:18144
	scratch_store_b32 off, v89, off offset:560 ; 4-byte Folded Spill
	ds_store_b128 v89, v[77:80] offset:16
	s_waitcnt lgkmcnt(0)
	s_waitcnt_vscnt null, 0x0
	s_barrier
	buffer_gl0_inv
	s_clause 0x1
	global_load_b128 v[84:87], v86, s[10:11]
	global_load_b128 v[111:114], v0, s[10:11]
	v_lshlrev_b32_e32 v0, 4, v83
	s_clause 0x3
	global_load_b128 v[135:138], v88, s[10:11]
	global_load_b128 v[117:120], v1, s[10:11]
	;; [unrolled: 1-line block ×3, first 2 shown]
	global_load_b64 v[88:89], v88, s[10:11] offset:8
	v_lshlrev_b32_e32 v0, 4, v134
	v_and_or_b32 v42, 0x7c, v42, v55
	v_lshlrev_b32_e32 v40, 1, v40
	v_lshlrev_b32_e32 v41, 1, v41
	s_load_b64 s[2:3], s[0:1], 0x38
	global_load_b64 v[100:101], v0, s[10:11]
	ds_load_b128 v[0:3], v172 offset:10080
	ds_load_b128 v[4:7], v172 offset:11088
	;; [unrolled: 1-line block ×10, first 2 shown]
	v_and_or_b32 v40, 0x3fc, v40, v83
	v_and_or_b32 v41, 0x4fc, v41, v131
	s_waitcnt vmcnt(6) lgkmcnt(0)
	v_mul_f64 v[43:44], v[2:3], v[86:87]
	v_mul_f64 v[45:46], v[0:1], v[86:87]
	;; [unrolled: 1-line block ×3, first 2 shown]
	s_waitcnt vmcnt(4)
	v_mul_f64 v[47:48], v[6:7], v[137:138]
	v_mul_f64 v[49:50], v[4:5], v[137:138]
	;; [unrolled: 1-line block ×7, first 2 shown]
	s_waitcnt vmcnt(3)
	v_mul_f64 v[65:66], v[22:23], v[119:120]
	v_mul_f64 v[67:68], v[20:21], v[119:120]
	;; [unrolled: 1-line block ×4, first 2 shown]
	s_waitcnt vmcnt(2)
	v_mul_f64 v[73:74], v[30:31], v[127:128]
	v_mul_f64 v[75:76], v[28:29], v[127:128]
	;; [unrolled: 1-line block ×4, first 2 shown]
	s_waitcnt vmcnt(1)
	v_mul_f64 v[81:82], v[38:39], v[88:89]
	s_clause 0x1
	scratch_store_b64 off, v[88:89], off offset:352
	scratch_store_b128 off, v[135:138], off offset:328
	v_mul_f64 v[88:89], v[36:37], v[88:89]
	s_waitcnt vmcnt(0)
	s_clause 0x3
	scratch_store_b64 off, v[100:101], off offset:364
	scratch_store_b128 off, v[125:128], off offset:380
	scratch_store_b128 off, v[111:114], off offset:420
	;; [unrolled: 1-line block ×3, first 2 shown]
	v_fma_f64 v[90:91], v[0:1], v[84:85], -v[43:44]
	v_fma_f64 v[96:97], v[2:3], v[84:85], v[45:46]
	v_fma_f64 v[102:103], v[8:9], v[84:85], -v[51:52]
	v_fma_f64 v[98:99], v[4:5], v[100:101], -v[47:48]
	v_fma_f64 v[100:101], v[6:7], v[100:101], v[49:50]
	v_fma_f64 v[104:105], v[10:11], v[84:85], v[53:54]
	v_fma_f64 v[106:107], v[12:13], v[111:112], -v[57:58]
	v_fma_f64 v[108:109], v[14:15], v[111:112], v[59:60]
	v_fma_f64 v[111:112], v[16:17], v[84:85], -v[61:62]
	;; [unrolled: 2-line block ×7, first 2 shown]
	ds_load_b128 v[0:3], v172
	v_fma_f64 v[129:130], v[38:39], v[135:136], v[88:89]
	ds_load_b128 v[4:7], v172 offset:1008
	ds_load_b128 v[8:11], v172 offset:2016
	;; [unrolled: 1-line block ×9, first 2 shown]
	s_waitcnt lgkmcnt(0)
	s_waitcnt_vscnt null, 0x0
	s_barrier
	buffer_gl0_inv
	v_add_f64 v[47:48], v[0:1], -v[90:91]
	v_add_f64 v[49:50], v[2:3], -v[96:97]
	;; [unrolled: 1-line block ×19, first 2 shown]
	v_lshlrev_b32_e32 v81, 1, v92
	v_add_f64 v[30:31], v[45:46], -v[129:130]
	v_lshlrev_b32_e32 v82, 1, v124
	v_lshlrev_b32_e32 v100, 1, v110
	;; [unrolled: 1-line block ×6, first 2 shown]
	v_and_or_b32 v42, 0xfc, v81, v134
	v_and_or_b32 v81, 0x1fc, v82, v55
	scratch_store_b32 off, v104, off offset:344 ; 4-byte Folded Spill
	v_lshlrev_b32_e32 v83, 4, v81
	v_fma_f64 v[96:97], v[0:1], 2.0, -v[47:48]
	v_fma_f64 v[98:99], v[2:3], 2.0, -v[49:50]
	;; [unrolled: 1-line block ×19, first 2 shown]
	v_and_or_b32 v43, 0x1fc, v100, v132
	v_fma_f64 v[2:3], v[45:46], 2.0, -v[30:31]
	v_and_or_b32 v44, 0x3fc, v101, v55
	v_and_or_b32 v45, 0x2fc, v102, v133
	;; [unrolled: 1-line block ×4, first 2 shown]
	v_lshlrev_b32_e32 v100, 4, v42
	v_lshlrev_b32_e32 v82, 4, v43
	;; [unrolled: 1-line block ×8, first 2 shown]
	ds_store_b128 v104, v[96:99]
	ds_store_b128 v104, v[47:50] offset:32
	ds_store_b128 v100, v[4:7]
	scratch_store_b32 off, v100, off offset:444 ; 4-byte Folded Spill
	ds_store_b128 v100, v[51:54] offset:32
	ds_store_b128 v83, v[8:11]
	scratch_store_b32 off, v83, off offset:440 ; 4-byte Folded Spill
	;; [unrolled: 3-line block ×9, first 2 shown]
	ds_store_b128 v40, v[28:31] offset:32
	s_waitcnt lgkmcnt(0)
	s_waitcnt_vscnt null, 0x0
	s_barrier
	buffer_gl0_inv
	ds_load_b128 v[24:27], v172
	ds_load_b128 v[20:23], v172 offset:1008
	ds_load_b128 v[80:83], v172 offset:6720
	;; [unrolled: 1-line block ×17, first 2 shown]
                                        ; implicit-def: $vgpr56_vgpr57
	s_and_saveexec_b32 s0, vcc_lo
	s_cbranch_execz .LBB0_3
; %bb.2:
	ds_load_b128 v[0:3], v172 offset:6048
	ds_load_b128 v[28:31], v172 offset:12768
	;; [unrolled: 1-line block ×3, first 2 shown]
.LBB0_3:
	s_or_b32 exec_lo, exec_lo, s0
	v_and_b32_e32 v96, 3, v173
	s_mov_b32 s0, 0xe8584caa
	s_mov_b32 s1, 0x3febb67a
	;; [unrolled: 1-line block ×4, first 2 shown]
	v_lshlrev_b32_e32 v99, 5, v96
	s_clause 0x1
	global_load_b128 v[88:91], v99, s[10:11] offset:32
	global_load_b128 v[112:115], v99, s[10:11] offset:48
	s_waitcnt vmcnt(1) lgkmcnt(15)
	v_mul_f64 v[97:98], v[82:83], v[90:91]
	s_delay_alu instid0(VALU_DEP_1) | instskip(SKIP_1) | instid1(VALU_DEP_1)
	v_fma_f64 v[97:98], v[80:81], v[88:89], -v[97:98]
	v_mul_f64 v[80:81], v[80:81], v[90:91]
	v_fma_f64 v[80:81], v[82:83], v[88:89], v[80:81]
	s_waitcnt vmcnt(0) lgkmcnt(13)
	v_mul_f64 v[82:83], v[78:79], v[114:115]
	s_delay_alu instid0(VALU_DEP_1) | instskip(SKIP_1) | instid1(VALU_DEP_1)
	v_fma_f64 v[82:83], v[76:77], v[112:113], -v[82:83]
	v_mul_f64 v[76:77], v[76:77], v[114:115]
	v_fma_f64 v[78:79], v[78:79], v[112:113], v[76:77]
	v_and_b32_e32 v77, 3, v92
	v_and_b32_e32 v76, 3, v94
	s_delay_alu instid0(VALU_DEP_2) | instskip(NEXT) | instid1(VALU_DEP_2)
	v_lshlrev_b32_e32 v99, 5, v77
	v_lshlrev_b32_e32 v109, 5, v76
	s_clause 0x3
	global_load_b64 v[101:102], v99, s[10:11] offset:32
	global_load_b128 v[129:132], v109, s[10:11] offset:32
	global_load_b128 v[149:152], v109, s[10:11] offset:48
	;; [unrolled: 1-line block ×3, first 2 shown]
	s_waitcnt vmcnt(3)
	scratch_store_b64 off, v[101:102], off offset:456 ; 8-byte Folded Spill
	s_waitcnt vmcnt(2)
	v_mul_f64 v[99:100], v[74:75], v[131:132]
	s_delay_alu instid0(VALU_DEP_1) | instskip(SKIP_1) | instid1(VALU_DEP_1)
	v_fma_f64 v[99:100], v[72:73], v[101:102], -v[99:100]
	v_mul_f64 v[72:73], v[72:73], v[131:132]
	v_fma_f64 v[72:73], v[74:75], v[101:102], v[72:73]
	s_waitcnt vmcnt(1) lgkmcnt(12)
	v_mul_f64 v[74:75], v[70:71], v[151:152]
	v_and_b32_e32 v101, 3, v93
	s_delay_alu instid0(VALU_DEP_1) | instskip(SKIP_4) | instid1(VALU_DEP_1)
	v_lshlrev_b32_e32 v111, 5, v101
	scratch_store_b32 off, v101, off offset:872 ; 4-byte Folded Spill
	s_waitcnt vmcnt(0)
	v_fma_f64 v[74:75], v[68:69], v[143:144], -v[74:75]
	v_mul_f64 v[68:69], v[68:69], v[151:152]
	v_fma_f64 v[69:70], v[70:71], v[143:144], v[68:69]
	v_and_b32_e32 v68, 3, v124
	s_delay_alu instid0(VALU_DEP_1)
	v_lshlrev_b32_e32 v71, 5, v68
	s_clause 0x3
	global_load_b64 v[103:104], v71, s[10:11] offset:32
	global_load_b128 v[133:136], v111, s[10:11] offset:32
	global_load_b128 v[145:148], v111, s[10:11] offset:48
	;; [unrolled: 1-line block ×3, first 2 shown]
	s_clause 0x1
	scratch_store_b128 off, v[129:132], off offset:480
	scratch_store_b128 off, v[141:144], off offset:512
	s_waitcnt vmcnt(3)
	scratch_store_b64 off, v[103:104], off offset:448 ; 8-byte Folded Spill
	s_waitcnt vmcnt(2)
	scratch_store_b128 off, v[133:136], off offset:464 ; 16-byte Folded Spill
	s_waitcnt lgkmcnt(9)
	v_mul_f64 v[101:102], v[66:67], v[135:136]
	s_waitcnt vmcnt(0)
	s_clause 0x1
	scratch_store_b128 off, v[137:140], off offset:496
	scratch_store_b128 off, v[145:148], off offset:528
	v_fma_f64 v[101:102], v[64:65], v[103:104], -v[101:102]
	v_mul_f64 v[64:65], v[64:65], v[135:136]
	s_delay_alu instid0(VALU_DEP_1) | instskip(SKIP_2) | instid1(VALU_DEP_1)
	v_fma_f64 v[64:65], v[66:67], v[103:104], v[64:65]
	s_waitcnt lgkmcnt(7)
	v_mul_f64 v[66:67], v[62:63], v[147:148]
	v_fma_f64 v[66:67], v[60:61], v[139:140], -v[66:67]
	v_mul_f64 v[60:61], v[60:61], v[147:148]
	s_delay_alu instid0(VALU_DEP_1) | instskip(SKIP_1) | instid1(VALU_DEP_1)
	v_fma_f64 v[61:62], v[62:63], v[139:140], v[60:61]
	v_and_b32_e32 v60, 3, v110
	v_lshlrev_b32_e32 v63, 5, v60
	s_clause 0x1
	global_load_b128 v[105:108], v63, s[10:11] offset:32
	global_load_b128 v[116:119], v63, s[10:11] offset:48
	s_waitcnt vmcnt(1)
	v_mul_f64 v[103:104], v[54:55], v[107:108]
	scratch_store_b128 off, v[105:108], off offset:576 ; 16-byte Folded Spill
	s_waitcnt vmcnt(0)
	scratch_store_b128 off, v[116:119], off offset:600 ; 16-byte Folded Spill
	v_fma_f64 v[103:104], v[52:53], v[105:106], -v[103:104]
	v_mul_f64 v[52:53], v[52:53], v[107:108]
	s_delay_alu instid0(VALU_DEP_1) | instskip(SKIP_2) | instid1(VALU_DEP_1)
	v_fma_f64 v[105:106], v[54:55], v[105:106], v[52:53]
	s_waitcnt lgkmcnt(6)
	v_mul_f64 v[52:53], v[46:47], v[118:119]
	v_fma_f64 v[107:108], v[44:45], v[116:117], -v[52:53]
	v_mul_f64 v[44:45], v[44:45], v[118:119]
	v_add_f64 v[52:53], v[99:100], -v[74:75]
	s_delay_alu instid0(VALU_DEP_2) | instskip(SKIP_2) | instid1(VALU_DEP_1)
	v_fma_f64 v[116:117], v[46:47], v[116:117], v[44:45]
	s_waitcnt lgkmcnt(3)
	v_mul_f64 v[44:45], v[50:51], v[90:91]
	v_fma_f64 v[118:119], v[48:49], v[88:89], -v[44:45]
	v_mul_f64 v[44:45], v[48:49], v[90:91]
	v_add_f64 v[48:49], v[72:73], -v[69:70]
	s_delay_alu instid0(VALU_DEP_2) | instskip(SKIP_2) | instid1(VALU_DEP_1)
	v_fma_f64 v[120:121], v[50:51], v[88:89], v[44:45]
	s_waitcnt lgkmcnt(1)
	v_mul_f64 v[44:45], v[42:43], v[114:115]
	v_fma_f64 v[122:123], v[40:41], v[112:113], -v[44:45]
	v_mul_f64 v[40:41], v[40:41], v[114:115]
	v_add_f64 v[44:45], v[97:98], -v[82:83]
	s_delay_alu instid0(VALU_DEP_2) | instskip(SKIP_1) | instid1(VALU_DEP_1)
	v_fma_f64 v[125:126], v[42:43], v[112:113], v[40:41]
	v_mul_f64 v[40:41], v[38:39], v[141:142]
	v_fma_f64 v[127:128], v[36:37], v[129:130], -v[40:41]
	v_mul_f64 v[36:37], v[36:37], v[141:142]
	v_add_f64 v[40:41], v[80:81], -v[78:79]
	s_delay_alu instid0(VALU_DEP_2)
	v_fma_f64 v[129:130], v[38:39], v[129:130], v[36:37]
	global_load_b64 v[38:39], v109, s[10:11] offset:56
	s_waitcnt vmcnt(0) lgkmcnt(0)
	v_mul_f64 v[36:37], v[34:35], v[38:39]
	scratch_store_b64 off, v[38:39], off offset:592 ; 8-byte Folded Spill
	v_fma_f64 v[131:132], v[32:33], v[149:150], -v[36:37]
	global_load_b64 v[36:37], v111, s[10:11] offset:56
	v_mul_f64 v[32:33], v[32:33], v[38:39]
	scratch_store_b128 off, v[149:152], off offset:544 ; 16-byte Folded Spill
	v_fma_f64 v[32:33], v[34:35], v[149:150], v[32:33]
	v_mul_f64 v[34:35], v[30:31], v[137:138]
	s_delay_alu instid0(VALU_DEP_1) | instskip(SKIP_1) | instid1(VALU_DEP_1)
	v_fma_f64 v[34:35], v[28:29], v[133:134], -v[34:35]
	v_mul_f64 v[28:29], v[28:29], v[137:138]
	v_fma_f64 v[28:29], v[30:31], v[133:134], v[28:29]
	s_waitcnt vmcnt(0)
	scratch_store_b64 off, v[36:37], off offset:564 ; 8-byte Folded Spill
	v_mul_f64 v[30:31], v[58:59], v[36:37]
	v_mul_f64 v[36:37], v[56:57], v[36:37]
	s_waitcnt_vscnt null, 0x0
	s_barrier
	buffer_gl0_inv
	v_fma_f64 v[30:31], v[56:57], v[145:146], -v[30:31]
	v_fma_f64 v[133:134], v[58:59], v[145:146], v[36:37]
	v_add_f64 v[36:37], v[97:98], v[82:83]
	v_add_f64 v[56:57], v[64:65], -v[61:62]
	s_delay_alu instid0(VALU_DEP_2) | instskip(SKIP_2) | instid1(VALU_DEP_2)
	v_fma_f64 v[38:39], v[36:37], -0.5, v[24:25]
	v_add_f64 v[36:37], v[80:81], v[78:79]
	v_add_f64 v[24:25], v[24:25], v[97:98]
	v_fma_f64 v[42:43], v[36:37], -0.5, v[26:27]
	s_delay_alu instid0(VALU_DEP_4)
	v_fma_f64 v[36:37], v[40:41], s[0:1], v[38:39]
	v_fma_f64 v[40:41], v[40:41], s[12:13], v[38:39]
	v_add_f64 v[26:27], v[26:27], v[80:81]
	v_add_f64 v[24:25], v[24:25], v[82:83]
	v_add_f64 v[80:81], v[120:121], -v[125:126]
	v_add_f64 v[82:83], v[118:119], -v[122:123]
	v_fma_f64 v[38:39], v[44:45], s[12:13], v[42:43]
	v_fma_f64 v[42:43], v[44:45], s[0:1], v[42:43]
	v_add_f64 v[44:45], v[99:100], v[74:75]
	v_add_f64 v[26:27], v[26:27], v[78:79]
	s_delay_alu instid0(VALU_DEP_2) | instskip(SKIP_2) | instid1(VALU_DEP_2)
	v_fma_f64 v[46:47], v[44:45], -0.5, v[20:21]
	v_add_f64 v[44:45], v[72:73], v[69:70]
	v_add_f64 v[20:21], v[20:21], v[99:100]
	v_fma_f64 v[50:51], v[44:45], -0.5, v[22:23]
	s_delay_alu instid0(VALU_DEP_4)
	v_fma_f64 v[44:45], v[48:49], s[0:1], v[46:47]
	v_fma_f64 v[48:49], v[48:49], s[12:13], v[46:47]
	v_add_f64 v[22:23], v[22:23], v[72:73]
	v_add_f64 v[71:72], v[103:104], -v[107:108]
	v_add_f64 v[20:21], v[20:21], v[74:75]
	v_add_f64 v[73:74], v[120:121], v[125:126]
	v_fma_f64 v[46:47], v[52:53], s[12:13], v[50:51]
	v_fma_f64 v[50:51], v[52:53], s[0:1], v[50:51]
	v_add_f64 v[52:53], v[101:102], v[66:67]
	v_add_f64 v[22:23], v[22:23], v[69:70]
	v_add_f64 v[69:70], v[105:106], -v[116:117]
	v_fma_f64 v[73:74], v[73:74], -0.5, v[10:11]
	v_add_f64 v[10:11], v[10:11], v[120:121]
	v_fma_f64 v[54:55], v[52:53], -0.5, v[16:17]
	v_add_f64 v[52:53], v[64:65], v[61:62]
	v_add_f64 v[16:17], v[16:17], v[101:102]
	v_fma_f64 v[99:100], v[82:83], s[0:1], v[73:74]
	v_add_f64 v[10:11], v[10:11], v[125:126]
	s_delay_alu instid0(VALU_DEP_4) | instskip(SKIP_4) | instid1(VALU_DEP_4)
	v_fma_f64 v[58:59], v[52:53], -0.5, v[18:19]
	v_add_f64 v[18:19], v[18:19], v[64:65]
	v_fma_f64 v[52:53], v[56:57], s[0:1], v[54:55]
	v_fma_f64 v[56:57], v[56:57], s[12:13], v[54:55]
	v_add_f64 v[16:17], v[16:17], v[66:67]
	v_add_f64 v[18:19], v[18:19], v[61:62]
	v_add_f64 v[61:62], v[101:102], -v[66:67]
	s_delay_alu instid0(VALU_DEP_1) | instskip(SKIP_2) | instid1(VALU_DEP_1)
	v_fma_f64 v[54:55], v[61:62], s[12:13], v[58:59]
	v_fma_f64 v[58:59], v[61:62], s[0:1], v[58:59]
	v_add_f64 v[61:62], v[103:104], v[107:108]
	v_fma_f64 v[63:64], v[61:62], -0.5, v[12:13]
	v_add_f64 v[61:62], v[105:106], v[116:117]
	v_add_f64 v[12:13], v[12:13], v[103:104]
	s_delay_alu instid0(VALU_DEP_2) | instskip(NEXT) | instid1(VALU_DEP_4)
	v_fma_f64 v[65:66], v[61:62], -0.5, v[14:15]
	v_fma_f64 v[61:62], v[69:70], s[0:1], v[63:64]
	v_fma_f64 v[69:70], v[69:70], s[12:13], v[63:64]
	v_add_f64 v[14:15], v[14:15], v[105:106]
	v_add_f64 v[12:13], v[12:13], v[107:108]
	v_fma_f64 v[63:64], v[71:72], s[12:13], v[65:66]
	v_fma_f64 v[71:72], v[71:72], s[0:1], v[65:66]
	v_add_f64 v[65:66], v[118:119], v[122:123]
	v_add_f64 v[14:15], v[14:15], v[116:117]
	s_delay_alu instid0(VALU_DEP_2) | instskip(SKIP_1) | instid1(VALU_DEP_2)
	v_fma_f64 v[65:66], v[65:66], -0.5, v[8:9]
	v_add_f64 v[8:9], v[8:9], v[118:119]
	v_fma_f64 v[78:79], v[80:81], s[0:1], v[65:66]
	v_fma_f64 v[97:98], v[80:81], s[12:13], v[65:66]
	;; [unrolled: 1-line block ×3, first 2 shown]
	v_add_f64 v[73:74], v[129:130], v[32:33]
	v_add_f64 v[65:66], v[127:128], v[131:132]
	v_add_f64 v[82:83], v[129:130], -v[32:33]
	v_add_f64 v[8:9], v[8:9], v[122:123]
	s_delay_alu instid0(VALU_DEP_4) | instskip(SKIP_3) | instid1(VALU_DEP_3)
	v_fma_f64 v[73:74], v[73:74], -0.5, v[6:7]
	v_add_f64 v[6:7], v[6:7], v[129:130]
	v_fma_f64 v[65:66], v[65:66], -0.5, v[4:5]
	v_add_f64 v[4:5], v[4:5], v[127:128]
	v_add_f64 v[6:7], v[6:7], v[32:33]
	v_add_f64 v[32:33], v[127:128], -v[131:132]
	s_delay_alu instid0(VALU_DEP_4)
	v_fma_f64 v[101:102], v[82:83], s[0:1], v[65:66]
	v_fma_f64 v[105:106], v[82:83], s[12:13], v[65:66]
	v_add_f64 v[65:66], v[28:29], v[133:134]
	v_add_f64 v[4:5], v[4:5], v[131:132]
	v_fma_f64 v[103:104], v[32:33], s[12:13], v[73:74]
	v_fma_f64 v[107:108], v[32:33], s[0:1], v[73:74]
	v_add_f64 v[32:33], v[34:35], v[30:31]
	v_fma_f64 v[65:66], v[65:66], -0.5, v[2:3]
	v_add_f64 v[2:3], v[2:3], v[28:29]
	v_add_f64 v[73:74], v[28:29], -v[133:134]
	s_delay_alu instid0(VALU_DEP_4) | instskip(SKIP_3) | instid1(VALU_DEP_4)
	v_fma_f64 v[32:33], v[32:33], -0.5, v[0:1]
	v_add_f64 v[0:1], v[0:1], v[34:35]
	v_add_f64 v[34:35], v[34:35], -v[30:31]
	v_add_f64 v[2:3], v[2:3], v[133:134]
	v_fma_f64 v[28:29], v[73:74], s[0:1], v[32:33]
	s_delay_alu instid0(VALU_DEP_4) | instskip(NEXT) | instid1(VALU_DEP_4)
	v_add_f64 v[0:1], v[0:1], v[30:31]
	v_fma_f64 v[30:31], v[34:35], s[12:13], v[65:66]
	v_fma_f64 v[34:35], v[34:35], s[0:1], v[65:66]
	v_lshrrev_b32_e32 v65, 2, v173
	v_fma_f64 v[32:33], v[73:74], s[12:13], v[32:33]
	s_delay_alu instid0(VALU_DEP_2) | instskip(NEXT) | instid1(VALU_DEP_1)
	v_mul_u32_u24_e32 v65, 12, v65
	v_or_b32_e32 v65, v65, v96
	s_delay_alu instid0(VALU_DEP_1)
	v_lshlrev_b32_e32 v65, 4, v65
	ds_store_b128 v65, v[24:27]
	ds_store_b128 v65, v[36:39] offset:64
	v_lshrrev_b32_e32 v24, 2, v92
	scratch_store_b32 off, v65, off offset:664 ; 4-byte Folded Spill
	ds_store_b128 v65, v[40:43] offset:128
	v_mul_u32_u24_e32 v24, 12, v24
	s_delay_alu instid0(VALU_DEP_1) | instskip(NEXT) | instid1(VALU_DEP_1)
	v_or_b32_e32 v24, v24, v77
	v_lshlrev_b32_e32 v24, 4, v24
	ds_store_b128 v24, v[20:23]
	ds_store_b128 v24, v[44:47] offset:64
	v_lshrrev_b32_e32 v20, 2, v124
	scratch_store_b32 off, v24, off offset:660 ; 4-byte Folded Spill
	ds_store_b128 v24, v[48:51] offset:128
	v_mul_u32_u24_e32 v20, 12, v20
	s_delay_alu instid0(VALU_DEP_1) | instskip(NEXT) | instid1(VALU_DEP_1)
	v_or_b32_e32 v20, v20, v68
	;; [unrolled: 9-line block ×5, first 2 shown]
	v_lshlrev_b32_e32 v8, 4, v8
	ds_store_b128 v8, v[4:7]
	ds_store_b128 v8, v[101:104] offset:64
	v_lshrrev_b32_e32 v4, 2, v93
	scratch_store_b32 off, v8, off offset:636 ; 4-byte Folded Spill
	ds_store_b128 v8, v[105:108] offset:128
	scratch_store_b32 off, v4, off offset:876 ; 4-byte Folded Spill
	s_and_saveexec_b32 s0, vcc_lo
	s_cbranch_execz .LBB0_5
; %bb.4:
	v_lshrrev_b32_e32 v4, 2, v93
	v_and_b32_e32 v5, 3, v93
	s_delay_alu instid0(VALU_DEP_2) | instskip(NEXT) | instid1(VALU_DEP_1)
	v_mul_u32_u24_e32 v4, 12, v4
	v_or_b32_e32 v4, v4, v5
	s_delay_alu instid0(VALU_DEP_1)
	v_lshlrev_b32_e32 v4, 4, v4
	ds_store_b128 v4, v[0:3]
	ds_store_b128 v4, v[28:31] offset:64
	ds_store_b128 v4, v[32:35] offset:128
.LBB0_5:
	s_or_b32 exec_lo, exec_lo, s0
	s_waitcnt lgkmcnt(0)
	s_waitcnt_vscnt null, 0x0
	s_barrier
	buffer_gl0_inv
	ds_load_b128 v[24:27], v172
	ds_load_b128 v[20:23], v172 offset:1008
	ds_load_b128 v[80:83], v172 offset:6720
	;; [unrolled: 1-line block ×17, first 2 shown]
	s_and_saveexec_b32 s0, vcc_lo
	s_cbranch_execz .LBB0_7
; %bb.6:
	ds_load_b128 v[0:3], v172 offset:6048
	ds_load_b128 v[28:31], v172 offset:12768
	ds_load_b128 v[32:35], v172 offset:19488
.LBB0_7:
	s_or_b32 exec_lo, exec_lo, s0
	v_and_b32_e32 v96, 0xff, v173
	v_and_b32_e32 v116, 0xff, v124
	;; [unrolled: 1-line block ×3, first 2 shown]
	s_delay_alu instid0(VALU_DEP_3) | instskip(NEXT) | instid1(VALU_DEP_1)
	v_mul_lo_u16 v96, 0xab, v96
	v_lshrrev_b16 v96, 11, v96
	s_delay_alu instid0(VALU_DEP_1) | instskip(NEXT) | instid1(VALU_DEP_1)
	v_mul_lo_u16 v97, v96, 12
	v_sub_nc_u16 v97, v173, v97
	s_delay_alu instid0(VALU_DEP_1) | instskip(NEXT) | instid1(VALU_DEP_1)
	v_and_b32_e32 v97, 0xff, v97
	v_lshlrev_b32_e32 v100, 5, v97
	global_load_b128 v[101:104], v100, s[10:11] offset:160
	s_waitcnt vmcnt(0) lgkmcnt(15)
	v_mul_f64 v[98:99], v[82:83], v[103:104]
	scratch_store_b128 off, v[101:104], off offset:668 ; 16-byte Folded Spill
	v_fma_f64 v[98:99], v[80:81], v[101:102], -v[98:99]
	v_mul_f64 v[80:81], v[80:81], v[103:104]
	s_delay_alu instid0(VALU_DEP_1)
	v_fma_f64 v[81:82], v[82:83], v[101:102], v[80:81]
	global_load_b128 v[102:105], v100, s[10:11] offset:176
	v_and_b32_e32 v80, 0xff, v92
	s_waitcnt vmcnt(0) lgkmcnt(13)
	v_mul_f64 v[100:101], v[78:79], v[104:105]
	scratch_store_b128 off, v[102:105], off offset:684 ; 16-byte Folded Spill
	v_fma_f64 v[100:101], v[76:77], v[102:103], -v[100:101]
	v_mul_f64 v[76:77], v[76:77], v[104:105]
	s_delay_alu instid0(VALU_DEP_1) | instskip(SKIP_1) | instid1(VALU_DEP_1)
	v_fma_f64 v[78:79], v[78:79], v[102:103], v[76:77]
	v_mul_lo_u16 v76, 0xab, v80
	v_lshrrev_b16 v76, 11, v76
	s_delay_alu instid0(VALU_DEP_1) | instskip(NEXT) | instid1(VALU_DEP_1)
	v_mul_lo_u16 v77, v76, 12
	v_sub_nc_u16 v77, v92, v77
	s_delay_alu instid0(VALU_DEP_1) | instskip(NEXT) | instid1(VALU_DEP_1)
	v_and_b32_e32 v77, 0xff, v77
	v_lshlrev_b32_e32 v83, 5, v77
	global_load_b128 v[104:107], v83, s[10:11] offset:160
	s_waitcnt vmcnt(0)
	v_mul_f64 v[102:103], v[74:75], v[106:107]
	scratch_store_b128 off, v[104:107], off offset:700 ; 16-byte Folded Spill
	v_fma_f64 v[102:103], v[72:73], v[104:105], -v[102:103]
	v_mul_f64 v[72:73], v[72:73], v[106:107]
	s_delay_alu instid0(VALU_DEP_1)
	v_fma_f64 v[72:73], v[74:75], v[104:105], v[72:73]
	global_load_b128 v[104:107], v83, s[10:11] offset:176
	s_waitcnt vmcnt(0) lgkmcnt(12)
	v_mul_f64 v[74:75], v[70:71], v[106:107]
	scratch_store_b128 off, v[104:107], off offset:716 ; 16-byte Folded Spill
	v_fma_f64 v[74:75], v[68:69], v[104:105], -v[74:75]
	v_mul_f64 v[68:69], v[68:69], v[106:107]
	s_delay_alu instid0(VALU_DEP_1) | instskip(SKIP_1) | instid1(VALU_DEP_1)
	v_fma_f64 v[70:71], v[70:71], v[104:105], v[68:69]
	v_mul_lo_u16 v68, 0xab, v116
	v_lshrrev_b16 v68, 11, v68
	s_delay_alu instid0(VALU_DEP_1) | instskip(NEXT) | instid1(VALU_DEP_1)
	v_mul_lo_u16 v69, v68, 12
	v_sub_nc_u16 v69, v124, v69
	s_delay_alu instid0(VALU_DEP_1) | instskip(NEXT) | instid1(VALU_DEP_1)
	v_and_b32_e32 v69, 0xff, v69
	v_lshlrev_b32_e32 v83, 5, v69
	global_load_b128 v[106:109], v83, s[10:11] offset:160
	s_waitcnt vmcnt(0) lgkmcnt(9)
	v_mul_f64 v[104:105], v[66:67], v[108:109]
	scratch_store_b128 off, v[106:109], off offset:732 ; 16-byte Folded Spill
	v_fma_f64 v[104:105], v[64:65], v[106:107], -v[104:105]
	v_mul_f64 v[64:65], v[64:65], v[108:109]
	s_delay_alu instid0(VALU_DEP_1) | instskip(SKIP_3) | instid1(VALU_DEP_1)
	v_fma_f64 v[64:65], v[66:67], v[106:107], v[64:65]
	global_load_b128 v[106:109], v83, s[10:11] offset:176
	s_waitcnt vmcnt(0) lgkmcnt(7)
	v_mul_f64 v[66:67], v[62:63], v[108:109]
	v_fma_f64 v[66:67], v[60:61], v[106:107], -v[66:67]
	v_mul_f64 v[60:61], v[60:61], v[108:109]
	s_delay_alu instid0(VALU_DEP_1) | instskip(SKIP_1) | instid1(VALU_DEP_1)
	v_fma_f64 v[62:63], v[62:63], v[106:107], v[60:61]
	v_mul_lo_u16 v60, 0xab, v111
	v_lshrrev_b16 v60, 11, v60
	s_delay_alu instid0(VALU_DEP_1) | instskip(NEXT) | instid1(VALU_DEP_1)
	v_mul_lo_u16 v61, v60, 12
	v_sub_nc_u16 v61, v110, v61
	s_delay_alu instid0(VALU_DEP_1) | instskip(NEXT) | instid1(VALU_DEP_1)
	v_and_b32_e32 v61, 0xff, v61
	v_lshlrev_b32_e32 v83, 5, v61
	global_load_b128 v[117:120], v83, s[10:11] offset:160
	scratch_store_b128 off, v[106:109], off offset:748 ; 16-byte Folded Spill
	s_waitcnt vmcnt(0)
	scratch_store_b128 off, v[117:120], off offset:764 ; 16-byte Folded Spill
	v_mul_f64 v[106:107], v[58:59], v[119:120]
	s_delay_alu instid0(VALU_DEP_1) | instskip(SKIP_1) | instid1(VALU_DEP_1)
	v_fma_f64 v[106:107], v[56:57], v[117:118], -v[106:107]
	v_mul_f64 v[56:57], v[56:57], v[119:120]
	v_fma_f64 v[58:59], v[58:59], v[117:118], v[56:57]
	global_load_b128 v[117:120], v83, s[10:11] offset:176
	s_waitcnt vmcnt(0) lgkmcnt(6)
	v_mul_f64 v[56:57], v[54:55], v[119:120]
	scratch_store_b128 off, v[117:120], off offset:780 ; 16-byte Folded Spill
	v_fma_f64 v[108:109], v[52:53], v[117:118], -v[56:57]
	v_mul_f64 v[52:53], v[52:53], v[119:120]
	s_delay_alu instid0(VALU_DEP_1) | instskip(SKIP_1) | instid1(VALU_DEP_1)
	v_fma_f64 v[117:118], v[54:55], v[117:118], v[52:53]
	v_and_b32_e32 v52, 0xffff, v95
	v_mul_u32_u24_e32 v52, 0xaaab, v52
	s_delay_alu instid0(VALU_DEP_1) | instskip(NEXT) | instid1(VALU_DEP_1)
	v_lshrrev_b32_e32 v52, 19, v52
	v_mul_lo_u16 v53, v52, 12
	s_delay_alu instid0(VALU_DEP_1) | instskip(NEXT) | instid1(VALU_DEP_1)
	v_sub_nc_u16 v53, v95, v53
	v_lshlrev_b16 v54, 5, v53
	s_delay_alu instid0(VALU_DEP_1) | instskip(NEXT) | instid1(VALU_DEP_1)
	v_and_b32_e32 v54, 0xffff, v54
	v_add_co_u32 v54, s0, s10, v54
	s_delay_alu instid0(VALU_DEP_1) | instskip(SKIP_3) | instid1(VALU_DEP_1)
	v_add_co_ci_u32_e64 v55, null, s11, 0, s0
	global_load_b128 v[125:128], v[54:55], off offset:160
	s_waitcnt vmcnt(0) lgkmcnt(3)
	v_mul_f64 v[56:57], v[50:51], v[127:128]
	v_fma_f64 v[119:120], v[48:49], v[125:126], -v[56:57]
	global_load_b128 v[54:57], v[54:55], off offset:176
	v_mul_f64 v[48:49], v[48:49], v[127:128]
	scratch_store_b128 off, v[125:128], off offset:796 ; 16-byte Folded Spill
	v_fma_f64 v[50:51], v[50:51], v[125:126], v[48:49]
	s_waitcnt vmcnt(0)
	scratch_store_b128 off, v[54:57], off offset:812 ; 16-byte Folded Spill
	s_waitcnt lgkmcnt(1)
	v_mul_f64 v[48:49], v[46:47], v[56:57]
	s_delay_alu instid0(VALU_DEP_1) | instskip(SKIP_1) | instid1(VALU_DEP_1)
	v_fma_f64 v[121:122], v[44:45], v[54:55], -v[48:49]
	v_mul_f64 v[44:45], v[44:45], v[56:57]
	v_fma_f64 v[125:126], v[46:47], v[54:55], v[44:45]
	v_and_b32_e32 v44, 0xffff, v94
	v_add_f64 v[54:55], v[72:73], -v[70:71]
	s_delay_alu instid0(VALU_DEP_2) | instskip(NEXT) | instid1(VALU_DEP_1)
	v_mul_u32_u24_e32 v44, 0xaaab, v44
	v_lshrrev_b32_e32 v44, 19, v44
	s_delay_alu instid0(VALU_DEP_1) | instskip(NEXT) | instid1(VALU_DEP_1)
	v_mul_lo_u16 v45, v44, 12
	v_sub_nc_u16 v45, v94, v45
	s_delay_alu instid0(VALU_DEP_1) | instskip(NEXT) | instid1(VALU_DEP_1)
	v_lshlrev_b16 v46, 5, v45
	v_and_b32_e32 v46, 0xffff, v46
	s_delay_alu instid0(VALU_DEP_1) | instskip(NEXT) | instid1(VALU_DEP_1)
	v_add_co_u32 v46, s0, s10, v46
	v_add_co_ci_u32_e64 v47, null, s11, 0, s0
	s_clause 0x1
	global_load_b128 v[200:203], v[46:47], off offset:160
	global_load_b128 v[204:207], v[46:47], off offset:176
	v_add_f64 v[46:47], v[98:99], -v[100:101]
	s_waitcnt vmcnt(1)
	v_mul_f64 v[48:49], v[42:43], v[202:203]
	s_delay_alu instid0(VALU_DEP_1) | instskip(SKIP_1) | instid1(VALU_DEP_1)
	v_fma_f64 v[127:128], v[40:41], v[200:201], -v[48:49]
	v_mul_f64 v[40:41], v[40:41], v[202:203]
	v_fma_f64 v[129:130], v[42:43], v[200:201], v[40:41]
	s_waitcnt vmcnt(0) lgkmcnt(0)
	v_mul_f64 v[40:41], v[38:39], v[206:207]
	s_delay_alu instid0(VALU_DEP_1) | instskip(SKIP_1) | instid1(VALU_DEP_1)
	v_fma_f64 v[131:132], v[36:37], v[204:205], -v[40:41]
	v_mul_f64 v[36:37], v[36:37], v[206:207]
	v_fma_f64 v[133:134], v[38:39], v[204:205], v[36:37]
	v_and_b32_e32 v36, 0xffff, v93
	s_delay_alu instid0(VALU_DEP_1) | instskip(NEXT) | instid1(VALU_DEP_1)
	v_mul_u32_u24_e32 v36, 0xaaab, v36
	v_lshrrev_b32_e32 v83, 19, v36
	s_delay_alu instid0(VALU_DEP_1) | instskip(NEXT) | instid1(VALU_DEP_1)
	v_mul_lo_u16 v36, v83, 12
	v_sub_nc_u16 v123, v93, v36
	s_delay_alu instid0(VALU_DEP_1) | instskip(NEXT) | instid1(VALU_DEP_1)
	v_lshlrev_b16 v36, 5, v123
	v_and_b32_e32 v36, 0xffff, v36
	s_delay_alu instid0(VALU_DEP_1) | instskip(NEXT) | instid1(VALU_DEP_1)
	v_add_co_u32 v40, s0, s10, v36
	v_add_co_ci_u32_e64 v41, null, s11, 0, s0
	s_mov_b32 s0, 0xe8584caa
	s_mov_b32 s1, 0x3febb67a
	;; [unrolled: 1-line block ×3, first 2 shown]
	s_clause 0x1
	global_load_b128 v[208:211], v[40:41], off offset:160
	global_load_b128 v[212:215], v[40:41], off offset:176
	v_add_f64 v[40:41], v[81:82], -v[78:79]
	s_waitcnt vmcnt(0)
	s_waitcnt_vscnt null, 0x0
	s_barrier
	buffer_gl0_inv
	v_mul_f64 v[36:37], v[30:31], v[210:211]
	s_delay_alu instid0(VALU_DEP_1) | instskip(SKIP_1) | instid1(VALU_DEP_1)
	v_fma_f64 v[36:37], v[28:29], v[208:209], -v[36:37]
	v_mul_f64 v[28:29], v[28:29], v[210:211]
	v_fma_f64 v[38:39], v[30:31], v[208:209], v[28:29]
	v_mul_f64 v[28:29], v[34:35], v[214:215]
	v_mul_f64 v[30:31], v[32:33], v[214:215]
	s_delay_alu instid0(VALU_DEP_2) | instskip(SKIP_1) | instid1(VALU_DEP_3)
	v_fma_f64 v[28:29], v[32:33], v[212:213], -v[28:29]
	v_add_f64 v[32:33], v[98:99], v[100:101]
	v_fma_f64 v[30:31], v[34:35], v[212:213], v[30:31]
	s_delay_alu instid0(VALU_DEP_2) | instskip(SKIP_2) | instid1(VALU_DEP_2)
	v_fma_f64 v[34:35], v[32:33], -0.5, v[24:25]
	v_add_f64 v[32:33], v[81:82], v[78:79]
	v_add_f64 v[24:25], v[24:25], v[98:99]
	v_fma_f64 v[42:43], v[32:33], -0.5, v[26:27]
	s_delay_alu instid0(VALU_DEP_4)
	v_fma_f64 v[32:33], v[40:41], s[0:1], v[34:35]
	v_fma_f64 v[40:41], v[40:41], s[12:13], v[34:35]
	v_add_f64 v[26:27], v[26:27], v[81:82]
	v_add_f64 v[24:25], v[24:25], v[100:101]
	v_fma_f64 v[34:35], v[46:47], s[12:13], v[42:43]
	v_fma_f64 v[42:43], v[46:47], s[0:1], v[42:43]
	v_add_f64 v[46:47], v[102:103], v[74:75]
	v_add_f64 v[26:27], v[26:27], v[78:79]
	v_add_f64 v[78:79], v[106:107], -v[108:109]
	s_delay_alu instid0(VALU_DEP_3) | instskip(SKIP_2) | instid1(VALU_DEP_2)
	v_fma_f64 v[48:49], v[46:47], -0.5, v[20:21]
	v_add_f64 v[46:47], v[72:73], v[70:71]
	v_add_f64 v[20:21], v[20:21], v[102:103]
	v_fma_f64 v[56:57], v[46:47], -0.5, v[22:23]
	v_add_f64 v[22:23], v[22:23], v[72:73]
	v_fma_f64 v[46:47], v[54:55], s[0:1], v[48:49]
	v_fma_f64 v[54:55], v[54:55], s[12:13], v[48:49]
	v_add_f64 v[72:73], v[64:65], v[62:63]
	v_add_f64 v[20:21], v[20:21], v[74:75]
	;; [unrolled: 1-line block ×3, first 2 shown]
	v_add_f64 v[70:71], v[102:103], -v[74:75]
	v_add_f64 v[74:75], v[58:59], v[117:118]
	v_fma_f64 v[72:73], v[72:73], -0.5, v[18:19]
	v_add_f64 v[18:19], v[18:19], v[64:65]
	v_add_f64 v[64:65], v[64:65], -v[62:63]
	v_fma_f64 v[48:49], v[70:71], s[12:13], v[56:57]
	v_fma_f64 v[56:57], v[70:71], s[0:1], v[56:57]
	v_add_f64 v[70:71], v[104:105], v[66:67]
	v_add_f64 v[18:19], v[18:19], v[62:63]
	v_fma_f64 v[74:75], v[74:75], -0.5, v[14:15]
	v_add_f64 v[14:15], v[14:15], v[58:59]
	v_add_f64 v[58:59], v[58:59], -v[117:118]
	v_fma_f64 v[70:71], v[70:71], -0.5, v[16:17]
	v_add_f64 v[16:17], v[16:17], v[104:105]
	v_fma_f64 v[100:101], v[78:79], s[12:13], v[74:75]
	v_add_f64 v[14:15], v[14:15], v[117:118]
	s_delay_alu instid0(VALU_DEP_4) | instskip(NEXT) | instid1(VALU_DEP_4)
	v_fma_f64 v[62:63], v[64:65], s[0:1], v[70:71]
	v_add_f64 v[16:17], v[16:17], v[66:67]
	v_add_f64 v[66:67], v[104:105], -v[66:67]
	v_fma_f64 v[70:71], v[64:65], s[12:13], v[70:71]
	v_fma_f64 v[104:105], v[78:79], s[0:1], v[74:75]
	v_add_f64 v[74:75], v[127:128], -v[131:132]
	s_delay_alu instid0(VALU_DEP_4) | instskip(SKIP_2) | instid1(VALU_DEP_1)
	v_fma_f64 v[64:65], v[66:67], s[12:13], v[72:73]
	v_fma_f64 v[72:73], v[66:67], s[0:1], v[72:73]
	v_add_f64 v[66:67], v[106:107], v[108:109]
	v_fma_f64 v[66:67], v[66:67], -0.5, v[12:13]
	v_add_f64 v[12:13], v[12:13], v[106:107]
	s_delay_alu instid0(VALU_DEP_2) | instskip(SKIP_4) | instid1(VALU_DEP_3)
	v_fma_f64 v[98:99], v[58:59], s[0:1], v[66:67]
	v_fma_f64 v[102:103], v[58:59], s[12:13], v[66:67]
	v_mul_lo_u16 v58, v96, 36
	v_add_f64 v[66:67], v[119:120], -v[121:122]
	v_add_f64 v[12:13], v[12:13], v[108:109]
	v_and_b32_e32 v58, 0xfc, v58
	s_delay_alu instid0(VALU_DEP_1)
	v_add_lshl_u32 v78, v58, v97, 4
	ds_store_b128 v78, v[24:27]
	ds_store_b128 v78, v[32:35] offset:192
	v_add_f64 v[24:25], v[119:120], v[121:122]
	v_and_b32_e32 v32, 0xffff, v76
	scratch_store_b32 off, v78, off offset:848 ; 4-byte Folded Spill
	ds_store_b128 v78, v[40:43] offset:384
	v_mul_u32_u24_e32 v32, 36, v32
	s_delay_alu instid0(VALU_DEP_1)
	v_add_lshl_u32 v32, v32, v77, 4
	ds_store_b128 v32, v[20:23]
	ds_store_b128 v32, v[46:49] offset:192
	v_and_b32_e32 v20, 0xffff, v68
	scratch_store_b32 off, v32, off offset:852 ; 4-byte Folded Spill
	ds_store_b128 v32, v[54:57] offset:384
	v_mul_u32_u24_e32 v20, 36, v20
	s_delay_alu instid0(VALU_DEP_1)
	v_add_lshl_u32 v20, v20, v69, 4
	ds_store_b128 v20, v[16:19]
	ds_store_b128 v20, v[62:65] offset:192
	v_and_b32_e32 v16, 0xffff, v60
	scratch_store_b32 off, v20, off offset:844 ; 4-byte Folded Spill
	ds_store_b128 v20, v[70:73] offset:384
	v_fma_f64 v[26:27], v[24:25], -0.5, v[8:9]
	v_add_f64 v[24:25], v[50:51], v[125:126]
	v_add_f64 v[8:9], v[8:9], v[119:120]
	v_mul_u32_u24_e32 v16, 36, v16
	s_delay_alu instid0(VALU_DEP_1)
	v_add_lshl_u32 v16, v16, v61, 4
	ds_store_b128 v16, v[12:15]
	ds_store_b128 v16, v[98:101] offset:192
	v_mad_u16 v12, v52, 36, v53
	scratch_store_b32 off, v16, off offset:840 ; 4-byte Folded Spill
	ds_store_b128 v16, v[102:105] offset:384
	v_and_b32_e32 v12, 0xffff, v12
	s_delay_alu instid0(VALU_DEP_1) | instskip(SKIP_4) | instid1(VALU_DEP_4)
	v_lshlrev_b32_e32 v12, 4, v12
	v_fma_f64 v[58:59], v[24:25], -0.5, v[10:11]
	v_add_f64 v[10:11], v[10:11], v[50:51]
	v_add_f64 v[50:51], v[50:51], -v[125:126]
	v_add_f64 v[8:9], v[8:9], v[121:122]
	v_fma_f64 v[95:96], v[66:67], s[0:1], v[58:59]
	s_delay_alu instid0(VALU_DEP_4) | instskip(NEXT) | instid1(VALU_DEP_4)
	v_add_f64 v[10:11], v[10:11], v[125:126]
	v_fma_f64 v[24:25], v[50:51], s[0:1], v[26:27]
	v_fma_f64 v[93:94], v[50:51], s[12:13], v[26:27]
	;; [unrolled: 1-line block ×3, first 2 shown]
	v_add_f64 v[50:51], v[127:128], v[131:132]
	v_add_f64 v[58:59], v[129:130], v[133:134]
	v_add_f64 v[66:67], v[129:130], -v[133:134]
	ds_store_b128 v12, v[8:11]
	ds_store_b128 v12, v[24:27] offset:192
	v_mad_u16 v8, v44, 36, v45
	v_fma_f64 v[50:51], v[50:51], -0.5, v[4:5]
	v_fma_f64 v[58:59], v[58:59], -0.5, v[6:7]
	v_add_f64 v[6:7], v[6:7], v[129:130]
	v_add_f64 v[4:5], v[4:5], v[127:128]
	v_and_b32_e32 v8, 0xffff, v8
	scratch_store_b32 off, v12, off offset:836 ; 4-byte Folded Spill
	ds_store_b128 v12, v[93:96] offset:384
	v_add_f64 v[10:11], v[36:37], -v[28:29]
	v_lshlrev_b32_e32 v8, 4, v8
	v_fma_f64 v[106:107], v[66:67], s[0:1], v[50:51]
	v_fma_f64 v[108:109], v[74:75], s[12:13], v[58:59]
	v_add_f64 v[6:7], v[6:7], v[133:134]
	v_add_f64 v[4:5], v[4:5], v[131:132]
	ds_store_b128 v8, v[4:7]
	ds_store_b128 v8, v[106:109] offset:192
	v_mad_u16 v4, v83, 36, v123
	v_fma_f64 v[117:118], v[66:67], s[12:13], v[50:51]
	v_fma_f64 v[119:120], v[74:75], s[0:1], v[58:59]
	scratch_store_b32 off, v8, off offset:832 ; 4-byte Folded Spill
	v_add_f64 v[6:7], v[38:39], v[30:31]
	scratch_store_b32 off, v4, off offset:828 ; 4-byte Folded Spill
	v_add_f64 v[4:5], v[36:37], v[28:29]
	ds_store_b128 v8, v[117:120] offset:384
	v_add_f64 v[8:9], v[38:39], -v[30:31]
	v_fma_f64 v[6:7], v[6:7], -0.5, v[2:3]
	v_fma_f64 v[4:5], v[4:5], -0.5, v[0:1]
	s_delay_alu instid0(VALU_DEP_2) | instskip(NEXT) | instid1(VALU_DEP_2)
	v_fma_f64 v[78:79], v[10:11], s[0:1], v[6:7]
	v_fma_f64 v[76:77], v[8:9], s[12:13], v[4:5]
	s_and_saveexec_b32 s12, vcc_lo
	s_cbranch_execz .LBB0_9
; %bb.8:
	v_mul_f64 v[10:11], v[10:11], s[0:1]
	v_add_f64 v[0:1], v[0:1], v[36:37]
	v_mul_f64 v[14:15], v[8:9], s[0:1]
	v_add_f64 v[12:13], v[2:3], v[38:39]
	s_delay_alu instid0(VALU_DEP_4) | instskip(NEXT) | instid1(VALU_DEP_4)
	v_add_f64 v[2:3], v[6:7], -v[10:11]
	v_add_f64 v[6:7], v[0:1], v[28:29]
	s_delay_alu instid0(VALU_DEP_4) | instskip(SKIP_4) | instid1(VALU_DEP_1)
	v_add_f64 v[0:1], v[14:15], v[4:5]
	scratch_load_b32 v4, off, off offset:828 ; 4-byte Folded Reload
	v_add_f64 v[8:9], v[12:13], v[30:31]
	s_waitcnt vmcnt(0)
	v_and_b32_e32 v4, 0xffff, v4
	v_lshlrev_b32_e32 v4, 4, v4
	ds_store_b128 v4, v[6:9]
	ds_store_b128 v4, v[0:3] offset:192
	ds_store_b128 v4, v[76:79] offset:384
.LBB0_9:
	s_or_b32 exec_lo, exec_lo, s12
	v_add_co_u32 v0, s1, 0xffffffdc, v173
	v_cmp_gt_u16_e64 s0, 36, v173
	v_add_co_ci_u32_e64 v1, null, 0, -1, s1
	s_waitcnt lgkmcnt(0)
	s_waitcnt_vscnt null, 0x0
	s_barrier
	v_cndmask_b32_e64 v12, v0, v173, s0
	v_cndmask_b32_e64 v13, v1, 0, s0
	buffer_gl0_inv
	s_mov_b32 s16, 0x134454ff
	s_mov_b32 s17, 0x3fee6f0e
	;; [unrolled: 1-line block ×3, first 2 shown]
	v_lshlrev_b64 v[0:1], 6, v[12:13]
	s_mov_b32 s18, s16
	s_mov_b32 s12, 0x4755a5e
	;; [unrolled: 1-line block ×5, first 2 shown]
	v_add_co_u32 v0, s0, s10, v0
	s_delay_alu instid0(VALU_DEP_1)
	v_add_co_ci_u32_e64 v1, s0, s11, v1, s0
	s_mov_b32 s20, 0x372fe950
	s_mov_b32 s21, 0x3fd3c6ef
	s_clause 0x3
	global_load_b128 v[220:223], v[0:1], off offset:544
	global_load_b128 v[240:243], v[0:1], off offset:560
	;; [unrolled: 1-line block ×4, first 2 shown]
	v_mul_lo_u16 v0, v80, 57
	v_cmp_lt_u16_e64 s0, 35, v173
	s_delay_alu instid0(VALU_DEP_2) | instskip(NEXT) | instid1(VALU_DEP_1)
	v_lshrrev_b16 v15, 11, v0
	v_mul_lo_u16 v0, v15, 36
	s_delay_alu instid0(VALU_DEP_1) | instskip(NEXT) | instid1(VALU_DEP_1)
	v_sub_nc_u16 v0, v92, v0
	v_and_b32_e32 v117, 0xff, v0
	s_delay_alu instid0(VALU_DEP_1)
	v_lshlrev_b32_e32 v28, 6, v117
	s_clause 0x1
	global_load_b128 v[228:231], v28, s[10:11] offset:544
	global_load_b128 v[224:227], v28, s[10:11] offset:560
	ds_load_b128 v[0:3], v172 offset:4032
	ds_load_b128 v[4:7], v172 offset:8064
	;; [unrolled: 1-line block ×3, first 2 shown]
	s_clause 0x1
	global_load_b128 v[244:247], v28, s[10:11] offset:576
	global_load_b128 v[248:251], v28, s[10:11] offset:592
	ds_load_b128 v[16:19], v172 offset:16128
	ds_load_b128 v[28:31], v172 offset:11088
	;; [unrolled: 1-line block ×3, first 2 shown]
	s_waitcnt vmcnt(7) lgkmcnt(5)
	v_mul_f64 v[13:14], v[2:3], v[222:223]
	s_waitcnt vmcnt(6) lgkmcnt(4)
	v_mul_f64 v[22:23], v[6:7], v[242:243]
	v_mul_f64 v[20:21], v[0:1], v[222:223]
	;; [unrolled: 1-line block ×3, first 2 shown]
	s_waitcnt vmcnt(5) lgkmcnt(3)
	v_mul_f64 v[26:27], v[10:11], v[238:239]
	v_fma_f64 v[98:99], v[0:1], v[220:221], -v[13:14]
	v_mul_f64 v[0:1], v[8:9], v[238:239]
	v_fma_f64 v[106:107], v[4:5], v[240:241], -v[22:23]
	s_waitcnt vmcnt(4) lgkmcnt(2)
	v_mul_f64 v[4:5], v[18:19], v[234:235]
	v_fma_f64 v[94:95], v[2:3], v[220:221], v[20:21]
	v_fma_f64 v[102:103], v[6:7], v[240:241], v[24:25]
	v_fma_f64 v[100:101], v[8:9], v[236:237], -v[26:27]
	ds_load_b128 v[24:27], v172 offset:7056
	v_mul_f64 v[13:14], v[16:17], v[234:235]
	v_fma_f64 v[96:97], v[10:11], v[236:237], v[0:1]
	ds_load_b128 v[0:3], v172 offset:5040
	v_fma_f64 v[108:109], v[16:17], v[232:233], -v[4:5]
	v_add_f64 v[145:146], v[106:107], -v[98:99]
	v_add_f64 v[125:126], v[106:107], v[100:101]
	v_add_f64 v[143:144], v[106:107], -v[100:101]
	v_fma_f64 v[104:105], v[18:19], v[232:233], v[13:14]
	ds_load_b128 v[16:19], v172 offset:14112
	s_waitcnt vmcnt(3) lgkmcnt(1)
	v_mul_f64 v[6:7], v[2:3], v[230:231]
	v_mul_f64 v[4:5], v[0:1], v[230:231]
	v_add_f64 v[139:140], v[102:103], -v[96:97]
	v_add_f64 v[141:142], v[98:99], -v[108:109]
	v_add_f64 v[137:138], v[94:95], -v[104:105]
	v_fma_f64 v[68:69], v[0:1], v[228:229], -v[6:7]
	v_fma_f64 v[66:67], v[2:3], v[228:229], v[4:5]
	ds_load_b128 v[0:3], v172 offset:9072
	s_waitcnt vmcnt(2) lgkmcnt(0)
	v_mul_f64 v[4:5], v[2:3], v[226:227]
	s_delay_alu instid0(VALU_DEP_1) | instskip(SKIP_1) | instid1(VALU_DEP_1)
	v_fma_f64 v[70:71], v[0:1], v[224:225], -v[4:5]
	v_mul_f64 v[0:1], v[0:1], v[226:227]
	v_fma_f64 v[72:73], v[2:3], v[224:225], v[0:1]
	ds_load_b128 v[0:3], v172 offset:13104
	s_waitcnt vmcnt(1) lgkmcnt(0)
	v_mul_f64 v[4:5], v[2:3], v[246:247]
	s_delay_alu instid0(VALU_DEP_1) | instskip(SKIP_1) | instid1(VALU_DEP_2)
	v_fma_f64 v[74:75], v[0:1], v[244:245], -v[4:5]
	v_mul_f64 v[0:1], v[0:1], v[246:247]
	v_add_f64 v[156:157], v[70:71], -v[74:75]
	s_delay_alu instid0(VALU_DEP_2) | instskip(SKIP_4) | instid1(VALU_DEP_2)
	v_fma_f64 v[80:81], v[2:3], v[244:245], v[0:1]
	ds_load_b128 v[0:3], v172 offset:17136
	s_waitcnt vmcnt(0) lgkmcnt(0)
	v_mul_f64 v[4:5], v[2:3], v[250:251]
	v_add_f64 v[152:153], v[72:73], -v[80:81]
	v_fma_f64 v[82:83], v[0:1], v[248:249], -v[4:5]
	v_mul_f64 v[0:1], v[0:1], v[250:251]
	ds_load_b128 v[4:7], v172 offset:6048
	v_add_f64 v[154:155], v[68:69], -v[82:83]
	v_fma_f64 v[92:93], v[2:3], v[248:249], v[0:1]
	v_mul_lo_u16 v0, v116, 57
	s_delay_alu instid0(VALU_DEP_1) | instskip(NEXT) | instid1(VALU_DEP_1)
	v_lshrrev_b16 v116, 11, v0
	v_mul_lo_u16 v0, v116, 36
	s_delay_alu instid0(VALU_DEP_1) | instskip(NEXT) | instid1(VALU_DEP_1)
	v_sub_nc_u16 v0, v124, v0
	v_and_b32_e32 v118, 0xff, v0
	s_delay_alu instid0(VALU_DEP_1) | instskip(SKIP_3) | instid1(VALU_DEP_1)
	v_lshlrev_b32_e32 v20, 6, v118
	global_load_b128 v[0:3], v20, s[10:11] offset:544
	s_waitcnt vmcnt(0) lgkmcnt(0)
	v_mul_f64 v[8:9], v[6:7], v[2:3]
	v_fma_f64 v[52:53], v[4:5], v[0:1], -v[8:9]
	v_mul_f64 v[4:5], v[4:5], v[2:3]
	ds_load_b128 v[8:11], v172 offset:10080
	v_fma_f64 v[50:51], v[6:7], v[0:1], v[4:5]
	global_load_b128 v[4:7], v20, s[10:11] offset:560
	s_waitcnt vmcnt(0) lgkmcnt(0)
	v_mul_f64 v[13:14], v[10:11], v[6:7]
	s_delay_alu instid0(VALU_DEP_1) | instskip(SKIP_1) | instid1(VALU_DEP_1)
	v_fma_f64 v[54:55], v[8:9], v[4:5], -v[13:14]
	v_mul_f64 v[8:9], v[8:9], v[6:7]
	v_fma_f64 v[56:57], v[10:11], v[4:5], v[8:9]
	global_load_b128 v[8:11], v20, s[10:11] offset:576
	s_waitcnt vmcnt(0)
	v_mul_f64 v[13:14], v[18:19], v[10:11]
	s_delay_alu instid0(VALU_DEP_1) | instskip(SKIP_1) | instid1(VALU_DEP_1)
	v_fma_f64 v[60:61], v[16:17], v[8:9], -v[13:14]
	v_mul_f64 v[13:14], v[16:17], v[10:11]
	v_fma_f64 v[58:59], v[18:19], v[8:9], v[13:14]
	global_load_b128 v[16:19], v20, s[10:11] offset:592
	ds_load_b128 v[20:23], v172 offset:18144
	s_waitcnt vmcnt(0) lgkmcnt(0)
	v_mul_f64 v[13:14], v[22:23], v[18:19]
	s_delay_alu instid0(VALU_DEP_1) | instskip(SKIP_1) | instid1(VALU_DEP_1)
	v_fma_f64 v[62:63], v[20:21], v[16:17], -v[13:14]
	v_mul_f64 v[13:14], v[20:21], v[18:19]
	v_fma_f64 v[64:65], v[22:23], v[16:17], v[13:14]
	v_mul_lo_u16 v13, v111, 57
	s_delay_alu instid0(VALU_DEP_1) | instskip(NEXT) | instid1(VALU_DEP_1)
	v_lshrrev_b16 v111, 11, v13
	v_mul_lo_u16 v13, v111, 36
	s_delay_alu instid0(VALU_DEP_1) | instskip(NEXT) | instid1(VALU_DEP_1)
	v_sub_nc_u16 v13, v110, v13
	v_and_b32_e32 v110, 0xff, v13
	s_delay_alu instid0(VALU_DEP_1) | instskip(SKIP_3) | instid1(VALU_DEP_1)
	v_lshlrev_b32_e32 v46, 6, v110
	global_load_b128 v[20:23], v46, s[10:11] offset:544
	s_waitcnt vmcnt(0)
	v_mul_f64 v[13:14], v[26:27], v[22:23]
	v_fma_f64 v[36:37], v[24:25], v[20:21], -v[13:14]
	v_mul_f64 v[13:14], v[24:25], v[22:23]
	s_delay_alu instid0(VALU_DEP_1) | instskip(SKIP_3) | instid1(VALU_DEP_1)
	v_fma_f64 v[13:14], v[26:27], v[20:21], v[13:14]
	global_load_b128 v[24:27], v46, s[10:11] offset:560
	s_waitcnt vmcnt(0)
	v_mul_f64 v[32:33], v[30:31], v[26:27]
	v_fma_f64 v[38:39], v[28:29], v[24:25], -v[32:33]
	global_load_b128 v[32:35], v46, s[10:11] offset:576
	v_mul_f64 v[28:29], v[28:29], v[26:27]
	s_delay_alu instid0(VALU_DEP_1) | instskip(SKIP_3) | instid1(VALU_DEP_1)
	v_fma_f64 v[40:41], v[30:31], v[24:25], v[28:29]
	ds_load_b128 v[28:31], v172 offset:15120
	s_waitcnt vmcnt(0) lgkmcnt(0)
	v_mul_f64 v[42:43], v[30:31], v[34:35]
	v_fma_f64 v[44:45], v[28:29], v[32:33], -v[42:43]
	v_mul_f64 v[28:29], v[28:29], v[34:35]
	s_delay_alu instid0(VALU_DEP_1) | instskip(SKIP_4) | instid1(VALU_DEP_2)
	v_fma_f64 v[42:43], v[30:31], v[32:33], v[28:29]
	global_load_b128 v[28:31], v46, s[10:11] offset:592
	s_waitcnt vmcnt(0)
	v_mul_f64 v[46:47], v[121:122], v[30:31]
	v_mul_f64 v[48:49], v[119:120], v[30:31]
	v_fma_f64 v[46:47], v[119:120], v[28:29], -v[46:47]
	s_delay_alu instid0(VALU_DEP_2) | instskip(SKIP_2) | instid1(VALU_DEP_1)
	v_fma_f64 v[48:49], v[121:122], v[28:29], v[48:49]
	v_add_f64 v[119:120], v[98:99], -v[106:107]
	v_add_f64 v[121:122], v[108:109], -v[100:101]
	v_add_f64 v[129:130], v[119:120], v[121:122]
	v_add_f64 v[119:120], v[94:95], -v[102:103]
	v_add_f64 v[121:122], v[104:105], -v[96:97]
	s_delay_alu instid0(VALU_DEP_1) | instskip(SKIP_4) | instid1(VALU_DEP_1)
	v_add_f64 v[131:132], v[119:120], v[121:122]
	ds_load_b128 v[119:122], v172
	s_waitcnt lgkmcnt(0)
	v_fma_f64 v[133:134], v[125:126], -0.5, v[119:120]
	v_add_f64 v[125:126], v[102:103], v[96:97]
	v_fma_f64 v[135:136], v[125:126], -0.5, v[121:122]
	s_delay_alu instid0(VALU_DEP_3) | instskip(SKIP_1) | instid1(VALU_DEP_3)
	v_fma_f64 v[125:126], v[137:138], s[16:17], v[133:134]
	v_fma_f64 v[133:134], v[137:138], s[18:19], v[133:134]
	;; [unrolled: 1-line block ×4, first 2 shown]
	s_delay_alu instid0(VALU_DEP_4) | instskip(NEXT) | instid1(VALU_DEP_4)
	v_fma_f64 v[125:126], v[139:140], s[12:13], v[125:126]
	v_fma_f64 v[133:134], v[139:140], s[14:15], v[133:134]
	s_delay_alu instid0(VALU_DEP_4) | instskip(NEXT) | instid1(VALU_DEP_4)
	v_fma_f64 v[127:128], v[143:144], s[14:15], v[127:128]
	v_fma_f64 v[135:136], v[143:144], s[12:13], v[135:136]
	;; [unrolled: 3-line block ×3, first 2 shown]
	v_add_f64 v[133:134], v[98:99], v[108:109]
	v_fma_f64 v[127:128], v[131:132], s[20:21], v[127:128]
	v_fma_f64 v[131:132], v[131:132], s[20:21], v[135:136]
	v_add_f64 v[135:136], v[94:95], v[104:105]
	s_delay_alu instid0(VALU_DEP_4) | instskip(SKIP_1) | instid1(VALU_DEP_3)
	v_fma_f64 v[133:134], v[133:134], -0.5, v[119:120]
	v_add_f64 v[119:120], v[119:120], v[98:99]
	v_fma_f64 v[135:136], v[135:136], -0.5, v[121:122]
	v_add_f64 v[121:122], v[121:122], v[94:95]
	v_add_f64 v[94:95], v[102:103], -v[94:95]
	s_delay_alu instid0(VALU_DEP_4) | instskip(NEXT) | instid1(VALU_DEP_4)
	v_add_f64 v[98:99], v[119:120], v[106:107]
	v_fma_f64 v[119:120], v[143:144], s[18:19], v[135:136]
	s_delay_alu instid0(VALU_DEP_4) | instskip(NEXT) | instid1(VALU_DEP_3)
	v_add_f64 v[106:107], v[121:122], v[102:103]
	v_add_f64 v[98:99], v[98:99], v[100:101]
	s_delay_alu instid0(VALU_DEP_2) | instskip(SKIP_1) | instid1(VALU_DEP_3)
	v_add_f64 v[102:103], v[106:107], v[96:97]
	v_add_f64 v[106:107], v[100:101], -v[108:109]
	v_add_f64 v[98:99], v[98:99], v[108:109]
	v_add_f64 v[96:97], v[96:97], -v[104:105]
	v_fma_f64 v[108:109], v[143:144], s[16:17], v[135:136]
	v_add_f64 v[100:101], v[102:103], v[104:105]
	v_fma_f64 v[104:105], v[139:140], s[16:17], v[133:134]
	v_fma_f64 v[102:103], v[139:140], s[18:19], v[133:134]
	v_add_f64 v[94:95], v[94:95], v[96:97]
	v_add_f64 v[106:107], v[145:146], v[106:107]
	v_add_f64 v[145:146], v[66:67], -v[92:93]
	v_fma_f64 v[121:122], v[137:138], s[14:15], v[104:105]
	v_fma_f64 v[104:105], v[141:142], s[14:15], v[108:109]
	;; [unrolled: 1-line block ×4, first 2 shown]
	v_add_f64 v[137:138], v[92:93], -v[80:81]
	s_delay_alu instid0(VALU_DEP_4) | instskip(NEXT) | instid1(VALU_DEP_4)
	v_fma_f64 v[104:105], v[94:95], s[20:21], v[104:105]
	v_fma_f64 v[108:109], v[94:95], s[20:21], v[108:109]
	v_cndmask_b32_e64 v94, 0, 0xb4, s0
	v_fma_f64 v[102:103], v[106:107], s[20:21], v[96:97]
	v_fma_f64 v[106:107], v[106:107], s[20:21], v[121:122]
	v_cmp_gt_u16_e64 s0, 54, v173
	s_delay_alu instid0(VALU_DEP_4)
	v_add_lshl_u32 v123, v12, v94, 4
	ds_load_b128 v[94:97], v172 offset:1008
	ds_load_b128 v[119:122], v172 offset:2016
	ds_load_b128 v[133:136], v172 offset:3024
	s_waitcnt lgkmcnt(0)
	s_barrier
	buffer_gl0_inv
	ds_store_b128 v123, v[98:101]
	v_add_f64 v[98:99], v[68:69], -v[70:71]
	v_add_f64 v[100:101], v[82:83], -v[74:75]
	ds_store_b128 v123, v[125:128] offset:576
	ds_store_b128 v123, v[102:105] offset:1152
	;; [unrolled: 1-line block ×3, first 2 shown]
	scratch_store_b32 off, v123, off offset:868 ; 4-byte Folded Spill
	ds_store_b128 v123, v[129:132] offset:2304
	v_add_f64 v[98:99], v[98:99], v[100:101]
	v_add_f64 v[100:101], v[66:67], -v[72:73]
	s_delay_alu instid0(VALU_DEP_1) | instskip(SKIP_1) | instid1(VALU_DEP_1)
	v_add_f64 v[100:101], v[100:101], v[137:138]
	v_add_f64 v[137:138], v[70:71], v[74:75]
	v_fma_f64 v[141:142], v[137:138], -0.5, v[94:95]
	v_add_f64 v[137:138], v[72:73], v[80:81]
	s_delay_alu instid0(VALU_DEP_1) | instskip(NEXT) | instid1(VALU_DEP_3)
	v_fma_f64 v[143:144], v[137:138], -0.5, v[96:97]
	v_fma_f64 v[137:138], v[145:146], s[16:17], v[141:142]
	v_fma_f64 v[141:142], v[145:146], s[18:19], v[141:142]
	s_delay_alu instid0(VALU_DEP_3) | instskip(SKIP_1) | instid1(VALU_DEP_4)
	v_fma_f64 v[139:140], v[154:155], s[18:19], v[143:144]
	v_fma_f64 v[143:144], v[154:155], s[16:17], v[143:144]
	;; [unrolled: 1-line block ×3, first 2 shown]
	s_delay_alu instid0(VALU_DEP_4) | instskip(NEXT) | instid1(VALU_DEP_4)
	v_fma_f64 v[141:142], v[152:153], s[14:15], v[141:142]
	v_fma_f64 v[139:140], v[156:157], s[14:15], v[139:140]
	s_delay_alu instid0(VALU_DEP_4) | instskip(NEXT) | instid1(VALU_DEP_4)
	v_fma_f64 v[143:144], v[156:157], s[12:13], v[143:144]
	v_fma_f64 v[137:138], v[98:99], s[20:21], v[137:138]
	s_delay_alu instid0(VALU_DEP_4)
	v_fma_f64 v[148:149], v[98:99], s[20:21], v[141:142]
	v_add_f64 v[98:99], v[68:69], v[82:83]
	v_add_f64 v[141:142], v[70:71], -v[68:69]
	v_fma_f64 v[139:140], v[100:101], s[20:21], v[139:140]
	v_fma_f64 v[150:151], v[100:101], s[20:21], v[143:144]
	v_add_f64 v[100:101], v[66:67], v[92:93]
	v_fma_f64 v[98:99], v[98:99], -0.5, v[94:95]
	v_add_f64 v[94:95], v[94:95], v[68:69]
	s_delay_alu instid0(VALU_DEP_3) | instskip(SKIP_1) | instid1(VALU_DEP_3)
	v_fma_f64 v[100:101], v[100:101], -0.5, v[96:97]
	v_add_f64 v[96:97], v[96:97], v[66:67]
	v_add_f64 v[68:69], v[94:95], v[70:71]
	s_delay_alu instid0(VALU_DEP_3) | instskip(NEXT) | instid1(VALU_DEP_3)
	v_fma_f64 v[94:95], v[156:157], s[18:19], v[100:101]
	v_add_f64 v[70:71], v[96:97], v[72:73]
	v_add_f64 v[72:73], v[72:73], -v[66:67]
	s_delay_alu instid0(VALU_DEP_4) | instskip(NEXT) | instid1(VALU_DEP_3)
	v_add_f64 v[66:67], v[68:69], v[74:75]
	v_add_f64 v[68:69], v[70:71], v[80:81]
	v_add_f64 v[70:71], v[74:75], -v[82:83]
	s_delay_alu instid0(VALU_DEP_3)
	v_add_f64 v[66:67], v[66:67], v[82:83]
	v_add_f64 v[74:75], v[80:81], -v[92:93]
	v_fma_f64 v[80:81], v[152:153], s[18:19], v[98:99]
	v_fma_f64 v[82:83], v[152:153], s[16:17], v[98:99]
	v_add_f64 v[98:99], v[50:51], -v[64:65]
	v_add_f64 v[152:153], v[52:53], -v[62:63]
	v_add_f64 v[68:69], v[68:69], v[92:93]
	v_fma_f64 v[92:93], v[156:157], s[16:17], v[100:101]
	v_add_f64 v[96:97], v[141:142], v[70:71]
	v_add_f64 v[74:75], v[72:73], v[74:75]
	v_fma_f64 v[70:71], v[145:146], s[12:13], v[80:81]
	v_fma_f64 v[80:81], v[145:146], s[14:15], v[82:83]
	v_fma_f64 v[82:83], v[154:155], s[12:13], v[94:95]
	v_add_f64 v[94:95], v[64:65], -v[58:59]
	v_add_f64 v[100:101], v[56:57], -v[58:59]
	v_fma_f64 v[72:73], v[154:155], s[14:15], v[92:93]
	v_add_f64 v[92:93], v[62:63], -v[60:61]
	v_add_f64 v[154:155], v[54:55], -v[60:61]
	v_fma_f64 v[70:71], v[96:97], s[20:21], v[70:71]
	v_fma_f64 v[80:81], v[96:97], s[20:21], v[80:81]
	;; [unrolled: 1-line block ×3, first 2 shown]
	v_add_f64 v[96:97], v[56:57], v[58:59]
	v_fma_f64 v[72:73], v[74:75], s[20:21], v[72:73]
	v_add_f64 v[74:75], v[52:53], -v[54:55]
	s_delay_alu instid0(VALU_DEP_3) | instskip(NEXT) | instid1(VALU_DEP_2)
	v_fma_f64 v[96:97], v[96:97], -0.5, v[121:122]
	v_add_f64 v[74:75], v[74:75], v[92:93]
	v_add_f64 v[92:93], v[50:51], -v[56:57]
	s_delay_alu instid0(VALU_DEP_3) | instskip(SKIP_1) | instid1(VALU_DEP_3)
	v_fma_f64 v[143:144], v[152:153], s[18:19], v[96:97]
	v_fma_f64 v[96:97], v[152:153], s[16:17], v[96:97]
	v_add_f64 v[92:93], v[92:93], v[94:95]
	v_add_f64 v[94:95], v[54:55], v[60:61]
	s_delay_alu instid0(VALU_DEP_4) | instskip(NEXT) | instid1(VALU_DEP_4)
	v_fma_f64 v[143:144], v[154:155], s[14:15], v[143:144]
	v_fma_f64 v[96:97], v[154:155], s[12:13], v[96:97]
	s_delay_alu instid0(VALU_DEP_3) | instskip(NEXT) | instid1(VALU_DEP_3)
	v_fma_f64 v[94:95], v[94:95], -0.5, v[119:120]
	v_fma_f64 v[158:159], v[92:93], s[20:21], v[143:144]
	s_delay_alu instid0(VALU_DEP_3) | instskip(SKIP_4) | instid1(VALU_DEP_3)
	v_fma_f64 v[146:147], v[92:93], s[20:21], v[96:97]
	v_add_f64 v[96:97], v[121:122], v[50:51]
	v_add_f64 v[92:93], v[50:51], v[64:65]
	v_fma_f64 v[141:142], v[98:99], s[16:17], v[94:95]
	v_fma_f64 v[94:95], v[98:99], s[18:19], v[94:95]
	v_fma_f64 v[92:93], v[92:93], -0.5, v[121:122]
	v_add_f64 v[121:122], v[36:37], -v[46:47]
	s_delay_alu instid0(VALU_DEP_4) | instskip(NEXT) | instid1(VALU_DEP_4)
	v_fma_f64 v[141:142], v[100:101], s[12:13], v[141:142]
	v_fma_f64 v[94:95], v[100:101], s[14:15], v[94:95]
	s_delay_alu instid0(VALU_DEP_2) | instskip(NEXT) | instid1(VALU_DEP_2)
	v_fma_f64 v[156:157], v[74:75], s[20:21], v[141:142]
	v_fma_f64 v[144:145], v[74:75], s[20:21], v[94:95]
	v_add_f64 v[74:75], v[52:53], v[62:63]
	v_add_f64 v[94:95], v[119:120], v[52:53]
	s_delay_alu instid0(VALU_DEP_2) | instskip(SKIP_1) | instid1(VALU_DEP_3)
	v_fma_f64 v[74:75], v[74:75], -0.5, v[119:120]
	v_add_f64 v[119:120], v[54:55], -v[52:53]
	v_add_f64 v[52:53], v[94:95], v[54:55]
	v_add_f64 v[54:55], v[96:97], v[56:57]
	v_add_f64 v[56:57], v[56:57], -v[50:51]
	s_delay_alu instid0(VALU_DEP_3) | instskip(NEXT) | instid1(VALU_DEP_3)
	v_add_f64 v[50:51], v[52:53], v[60:61]
	v_add_f64 v[52:53], v[54:55], v[58:59]
	v_add_f64 v[54:55], v[60:61], -v[62:63]
	v_add_f64 v[58:59], v[58:59], -v[64:65]
	v_fma_f64 v[60:61], v[100:101], s[18:19], v[74:75]
	v_add_f64 v[50:51], v[50:51], v[62:63]
	v_add_f64 v[52:53], v[52:53], v[64:65]
	v_fma_f64 v[62:63], v[100:101], s[16:17], v[74:75]
	v_fma_f64 v[64:65], v[154:155], s[16:17], v[92:93]
	;; [unrolled: 1-line block ×3, first 2 shown]
	v_add_f64 v[94:95], v[56:57], v[58:59]
	v_add_f64 v[92:93], v[119:120], v[54:55]
	v_fma_f64 v[54:55], v[98:99], s[12:13], v[60:61]
	v_add_f64 v[119:120], v[38:39], -v[44:45]
	v_add_f64 v[100:101], v[13:14], -v[48:49]
	v_fma_f64 v[58:59], v[98:99], s[14:15], v[62:63]
	v_fma_f64 v[56:57], v[152:153], s[14:15], v[64:65]
	v_add_f64 v[62:63], v[38:39], -v[36:37]
	v_add_f64 v[64:65], v[44:45], -v[46:47]
	v_fma_f64 v[60:61], v[152:153], s[12:13], v[74:75]
	v_add_f64 v[74:75], v[42:43], -v[48:49]
	v_fma_f64 v[54:55], v[92:93], s[20:21], v[54:55]
	v_add_f64 v[98:99], v[40:41], -v[42:43]
	v_fma_f64 v[58:59], v[92:93], s[20:21], v[58:59]
	v_add_f64 v[92:93], v[13:14], v[48:49]
	v_fma_f64 v[56:57], v[94:95], s[20:21], v[56:57]
	v_add_f64 v[62:63], v[62:63], v[64:65]
	v_add_f64 v[64:65], v[40:41], -v[13:14]
	v_fma_f64 v[60:61], v[94:95], s[20:21], v[60:61]
	v_fma_f64 v[96:97], v[92:93], -0.5, v[135:136]
	s_delay_alu instid0(VALU_DEP_3) | instskip(SKIP_1) | instid1(VALU_DEP_3)
	v_add_f64 v[64:65], v[64:65], v[74:75]
	v_add_f64 v[74:75], v[36:37], v[46:47]
	v_fma_f64 v[94:95], v[119:120], s[16:17], v[96:97]
	v_fma_f64 v[96:97], v[119:120], s[18:19], v[96:97]
	s_delay_alu instid0(VALU_DEP_3) | instskip(NEXT) | instid1(VALU_DEP_3)
	v_fma_f64 v[74:75], v[74:75], -0.5, v[133:134]
	v_fma_f64 v[94:95], v[121:122], s[14:15], v[94:95]
	s_delay_alu instid0(VALU_DEP_3) | instskip(NEXT) | instid1(VALU_DEP_3)
	v_fma_f64 v[96:97], v[121:122], s[12:13], v[96:97]
	v_fma_f64 v[92:93], v[98:99], s[18:19], v[74:75]
	;; [unrolled: 1-line block ×3, first 2 shown]
	s_delay_alu instid0(VALU_DEP_4) | instskip(NEXT) | instid1(VALU_DEP_4)
	v_fma_f64 v[94:95], v[64:65], s[20:21], v[94:95]
	v_fma_f64 v[178:179], v[64:65], s[20:21], v[96:97]
	v_add_f64 v[96:97], v[135:136], v[13:14]
	v_add_f64 v[64:65], v[40:41], v[42:43]
	v_fma_f64 v[92:93], v[100:101], s[12:13], v[92:93]
	v_fma_f64 v[74:75], v[100:101], s[14:15], v[74:75]
	v_add_f64 v[12:13], v[13:14], -v[40:41]
	s_delay_alu instid0(VALU_DEP_4) | instskip(NEXT) | instid1(VALU_DEP_4)
	v_fma_f64 v[64:65], v[64:65], -0.5, v[135:136]
	v_fma_f64 v[92:93], v[62:63], s[20:21], v[92:93]
	s_delay_alu instid0(VALU_DEP_4) | instskip(SKIP_3) | instid1(VALU_DEP_3)
	v_fma_f64 v[176:177], v[62:63], s[20:21], v[74:75]
	v_add_f64 v[74:75], v[133:134], v[36:37]
	v_add_f64 v[62:63], v[38:39], v[44:45]
	v_add_f64 v[36:37], v[36:37], -v[38:39]
	v_add_f64 v[38:39], v[74:75], v[38:39]
	v_add_f64 v[74:75], v[96:97], v[40:41]
	s_delay_alu instid0(VALU_DEP_4) | instskip(NEXT) | instid1(VALU_DEP_3)
	v_fma_f64 v[62:63], v[62:63], -0.5, v[133:134]
	v_add_f64 v[38:39], v[38:39], v[44:45]
	s_delay_alu instid0(VALU_DEP_3) | instskip(SKIP_1) | instid1(VALU_DEP_3)
	v_add_f64 v[40:41], v[74:75], v[42:43]
	v_add_f64 v[44:45], v[46:47], -v[44:45]
	v_add_f64 v[152:153], v[38:39], v[46:47]
	s_delay_alu instid0(VALU_DEP_3)
	v_add_f64 v[154:155], v[40:41], v[48:49]
	v_add_f64 v[38:39], v[48:49], -v[42:43]
	v_fma_f64 v[40:41], v[100:101], s[16:17], v[62:63]
	v_fma_f64 v[42:43], v[100:101], s[18:19], v[62:63]
	;; [unrolled: 1-line block ×4, first 2 shown]
	v_add_f64 v[36:37], v[36:37], v[44:45]
	v_add_f64 v[12:13], v[12:13], v[38:39]
	v_fma_f64 v[38:39], v[98:99], s[12:13], v[40:41]
	v_fma_f64 v[40:41], v[98:99], s[14:15], v[42:43]
	;; [unrolled: 1-line block ×4, first 2 shown]
	s_delay_alu instid0(VALU_DEP_4) | instskip(NEXT) | instid1(VALU_DEP_4)
	v_fma_f64 v[196:197], v[36:37], s[20:21], v[38:39]
	v_fma_f64 v[96:97], v[36:37], s[20:21], v[40:41]
	s_delay_alu instid0(VALU_DEP_4) | instskip(NEXT) | instid1(VALU_DEP_4)
	v_fma_f64 v[198:199], v[12:13], s[20:21], v[42:43]
	v_fma_f64 v[98:99], v[12:13], s[20:21], v[44:45]
	v_and_b32_e32 v12, 0xffff, v15
	s_delay_alu instid0(VALU_DEP_1) | instskip(NEXT) | instid1(VALU_DEP_1)
	v_mul_u32_u24_e32 v12, 0xb4, v12
	v_add_lshl_u32 v12, v12, v117, 4
	ds_store_b128 v12, v[66:69]
	ds_store_b128 v12, v[137:140] offset:576
	ds_store_b128 v12, v[70:73] offset:1152
	;; [unrolled: 1-line block ×3, first 2 shown]
	scratch_store_b32 off, v12, off offset:864 ; 4-byte Folded Spill
	ds_store_b128 v12, v[148:151] offset:2304
	v_and_b32_e32 v12, 0xffff, v116
	s_delay_alu instid0(VALU_DEP_1) | instskip(NEXT) | instid1(VALU_DEP_1)
	v_mul_u32_u24_e32 v12, 0xb4, v12
	v_add_lshl_u32 v13, v12, v118, 4
	v_and_b32_e32 v12, 0xffff, v111
	ds_store_b128 v13, v[50:53]
	ds_store_b128 v13, v[156:159] offset:576
	ds_store_b128 v13, v[54:57] offset:1152
	;; [unrolled: 1-line block ×3, first 2 shown]
	v_mul_u32_u24_e32 v12, 0xb4, v12
	scratch_store_b32 off, v13, off offset:860 ; 4-byte Folded Spill
	v_add_lshl_u32 v12, v12, v110, 4
	ds_store_b128 v13, v[144:147] offset:2304
	ds_store_b128 v12, v[152:155]
	ds_store_b128 v12, v[196:199] offset:576
	ds_store_b128 v12, v[92:95] offset:1152
	;; [unrolled: 1-line block ×3, first 2 shown]
	scratch_store_b32 off, v12, off offset:856 ; 4-byte Folded Spill
	ds_store_b128 v12, v[96:99] offset:2304
	s_waitcnt lgkmcnt(0)
	s_waitcnt_vscnt null, 0x0
	s_barrier
	buffer_gl0_inv
	ds_load_b128 v[80:83], v172
	ds_load_b128 v[148:151], v172 offset:1008
	ds_load_b128 v[64:67], v172 offset:2880
	;; [unrolled: 1-line block ×13, first 2 shown]
	s_and_saveexec_b32 s1, s0
	s_cbranch_execz .LBB0_11
; %bb.10:
	ds_load_b128 v[144:147], v172 offset:2016
	ds_load_b128 v[152:155], v172 offset:4896
	;; [unrolled: 1-line block ×7, first 2 shown]
.LBB0_11:
	s_or_b32 exec_lo, exec_lo, s1
	v_mad_u64_u32 v[120:121], null, 0x60, v173, s[10:11]
	s_mov_b32 s22, 0x37e14327
	s_mov_b32 s14, 0x36b3c0b5
	;; [unrolled: 1-line block ×6, first 2 shown]
	s_clause 0x3
	global_load_b128 v[252:255], v[120:121], off offset:2896
	global_load_b128 v[12:15], v[120:121], off offset:2880
	;; [unrolled: 1-line block ×4, first 2 shown]
	v_add_co_u32 v125, s1, 0x17a0, v120
	s_delay_alu instid0(VALU_DEP_1)
	v_add_co_ci_u32_e64 v126, s1, 0, v121, s1
	s_mov_b32 s24, 0xaaaaaaaa
	s_mov_b32 s12, 0x5476071b
	;; [unrolled: 1-line block ×12, first 2 shown]
	s_waitcnt vmcnt(0) lgkmcnt(11)
	v_mul_f64 v[122:123], v[66:67], v[50:51]
	s_delay_alu instid0(VALU_DEP_1) | instskip(SKIP_1) | instid1(VALU_DEP_1)
	v_fma_f64 v[164:165], v[64:65], v[48:49], -v[122:123]
	v_mul_f64 v[64:65], v[64:65], v[50:51]
	v_fma_f64 v[166:167], v[66:67], v[48:49], v[64:65]
	s_waitcnt lgkmcnt(9)
	v_mul_f64 v[64:65], v[62:63], v[46:47]
	s_delay_alu instid0(VALU_DEP_1) | instskip(SKIP_1) | instid1(VALU_DEP_1)
	v_fma_f64 v[168:169], v[60:61], v[44:45], -v[64:65]
	v_mul_f64 v[60:61], v[60:61], v[46:47]
	v_fma_f64 v[170:171], v[62:63], v[44:45], v[60:61]
	s_waitcnt lgkmcnt(7)
	;; [unrolled: 6-line block ×3, first 2 shown]
	v_mul_f64 v[56:57], v[54:55], v[254:255]
	s_delay_alu instid0(VALU_DEP_1) | instskip(SKIP_1) | instid1(VALU_DEP_1)
	v_fma_f64 v[184:185], v[52:53], v[252:253], -v[56:57]
	v_mul_f64 v[52:53], v[52:53], v[254:255]
	v_fma_f64 v[186:187], v[54:55], v[252:253], v[52:53]
	s_clause 0x1
	global_load_b128 v[56:59], v[120:121], off offset:2928
	global_load_b128 v[52:55], v[120:121], off offset:2912
	s_waitcnt vmcnt(0) lgkmcnt(3)
	v_mul_f64 v[60:61], v[42:43], v[54:55]
	s_delay_alu instid0(VALU_DEP_1) | instskip(SKIP_1) | instid1(VALU_DEP_1)
	v_fma_f64 v[188:189], v[40:41], v[52:53], -v[60:61]
	v_mul_f64 v[40:41], v[40:41], v[54:55]
	v_fma_f64 v[190:191], v[42:43], v[52:53], v[40:41]
	s_waitcnt lgkmcnt(1)
	v_mul_f64 v[40:41], v[38:39], v[58:59]
	s_delay_alu instid0(VALU_DEP_1) | instskip(SKIP_1) | instid1(VALU_DEP_1)
	v_fma_f64 v[192:193], v[36:37], v[56:57], -v[40:41]
	v_mul_f64 v[36:37], v[36:37], v[58:59]
	v_fma_f64 v[194:195], v[38:39], v[56:57], v[36:37]
	s_clause 0x3
	global_load_b128 v[36:39], v[125:126], off offset:2896
	global_load_b128 v[40:43], v[125:126], off offset:2880
	global_load_b128 v[60:63], v[125:126], off offset:2864
	global_load_b128 v[64:67], v[125:126], off offset:2848
	s_waitcnt vmcnt(0)
	v_mul_f64 v[120:121], v[118:119], v[66:67]
	s_delay_alu instid0(VALU_DEP_1) | instskip(SKIP_1) | instid1(VALU_DEP_1)
	v_fma_f64 v[156:157], v[116:117], v[64:65], -v[120:121]
	v_mul_f64 v[116:117], v[116:117], v[66:67]
	v_fma_f64 v[160:161], v[118:119], v[64:65], v[116:117]
	v_mul_f64 v[116:117], v[110:111], v[62:63]
	s_delay_alu instid0(VALU_DEP_1) | instskip(SKIP_1) | instid1(VALU_DEP_1)
	v_fma_f64 v[142:143], v[108:109], v[60:61], -v[116:117]
	v_mul_f64 v[108:109], v[108:109], v[62:63]
	v_fma_f64 v[120:121], v[110:111], v[60:61], v[108:109]
	;; [unrolled: 5-line block ×4, first 2 shown]
	s_clause 0x1
	global_load_b128 v[72:75], v[125:126], off offset:2928
	global_load_b128 v[68:71], v[125:126], off offset:2912
	s_waitcnt vmcnt(0)
	v_mul_f64 v[108:109], v[106:107], v[70:71]
	s_delay_alu instid0(VALU_DEP_1) | instskip(SKIP_1) | instid1(VALU_DEP_1)
	v_fma_f64 v[162:163], v[104:105], v[68:69], -v[108:109]
	v_mul_f64 v[104:105], v[104:105], v[70:71]
	v_fma_f64 v[104:105], v[106:107], v[68:69], v[104:105]
	s_waitcnt lgkmcnt(0)
	v_mul_f64 v[106:107], v[102:103], v[74:75]
	s_delay_alu instid0(VALU_DEP_1) | instskip(SKIP_1) | instid1(VALU_DEP_1)
	v_fma_f64 v[106:107], v[100:101], v[72:73], -v[106:107]
	v_mul_f64 v[100:101], v[100:101], v[74:75]
	v_fma_f64 v[100:101], v[102:103], v[72:73], v[100:101]
	v_subrev_nc_u32_e32 v102, 54, v173
	s_delay_alu instid0(VALU_DEP_1) | instskip(NEXT) | instid1(VALU_DEP_1)
	v_cndmask_b32_e64 v102, v102, v124, s0
	v_mul_hi_i32_i24_e32 v103, 0x60, v102
	v_mul_i32_i24_e32 v102, 0x60, v102
	s_delay_alu instid0(VALU_DEP_1) | instskip(NEXT) | instid1(VALU_DEP_1)
	v_add_co_u32 v102, s1, s10, v102
	v_add_co_ci_u32_e64 v103, s1, s11, v103, s1
	s_clause 0x3
	global_load_b128 v[132:135], v[102:103], off offset:2896
	global_load_b128 v[116:119], v[102:103], off offset:2880
	;; [unrolled: 1-line block ×4, first 2 shown]
	s_mov_b32 s10, 0x429ad128
	s_mov_b32 s11, 0x3febfeb5
	s_waitcnt vmcnt(3)
	scratch_store_b128 off, v[132:135], off offset:880 ; 16-byte Folded Spill
	s_waitcnt vmcnt(2)
	scratch_store_b128 off, v[116:119], off offset:896 ; 16-byte Folded Spill
	;; [unrolled: 2-line block ×3, first 2 shown]
	s_waitcnt vmcnt(0)
	v_mul_f64 v[108:109], v[154:155], v[126:127]
	scratch_store_b128 off, v[124:127], off offset:928 ; 16-byte Folded Spill
	v_fma_f64 v[128:129], v[152:153], v[124:125], -v[108:109]
	v_mul_f64 v[108:109], v[152:153], v[126:127]
	s_delay_alu instid0(VALU_DEP_1) | instskip(SKIP_1) | instid1(VALU_DEP_1)
	v_fma_f64 v[130:131], v[154:155], v[124:125], v[108:109]
	v_mul_f64 v[108:109], v[198:199], v[218:219]
	v_fma_f64 v[124:125], v[196:197], v[216:217], -v[108:109]
	v_mul_f64 v[108:109], v[196:197], v[218:219]
	s_delay_alu instid0(VALU_DEP_1) | instskip(SKIP_1) | instid1(VALU_DEP_1)
	v_fma_f64 v[126:127], v[198:199], v[216:217], v[108:109]
	v_mul_f64 v[108:109], v[94:95], v[118:119]
	v_fma_f64 v[108:109], v[92:93], v[116:117], -v[108:109]
	v_mul_f64 v[92:93], v[92:93], v[118:119]
	s_delay_alu instid0(VALU_DEP_1) | instskip(SKIP_2) | instid1(VALU_DEP_2)
	v_fma_f64 v[110:111], v[94:95], v[116:117], v[92:93]
	v_mul_f64 v[92:93], v[178:179], v[134:135]
	v_add_f64 v[94:95], v[164:165], -v[192:193]
	v_fma_f64 v[116:117], v[176:177], v[132:133], -v[92:93]
	v_mul_f64 v[92:93], v[176:177], v[134:135]
	s_clause 0x1
	global_load_b128 v[152:155], v[102:103], off offset:2928
	global_load_b128 v[134:137], v[102:103], off offset:2912
	v_add_f64 v[102:103], v[170:171], v[190:191]
	v_fma_f64 v[118:119], v[178:179], v[132:133], v[92:93]
	s_waitcnt vmcnt(1)
	scratch_store_b128 off, v[152:155], off offset:944 ; 16-byte Folded Spill
	s_waitcnt vmcnt(0)
	v_mul_f64 v[92:93], v[98:99], v[136:137]
	scratch_store_b128 off, v[134:137], off offset:960 ; 16-byte Folded Spill
	v_fma_f64 v[132:133], v[96:97], v[134:135], -v[92:93]
	v_mul_f64 v[92:93], v[96:97], v[136:137]
	v_add_f64 v[96:97], v[166:167], -v[194:195]
	s_delay_alu instid0(VALU_DEP_2) | instskip(SKIP_2) | instid1(VALU_DEP_2)
	v_fma_f64 v[134:135], v[98:99], v[134:135], v[92:93]
	v_mul_f64 v[92:93], v[78:79], v[154:155]
	v_add_f64 v[98:99], v[168:169], v[188:189]
	v_fma_f64 v[136:137], v[76:77], v[152:153], -v[92:93]
	v_mul_f64 v[76:77], v[76:77], v[154:155]
	v_add_f64 v[92:93], v[166:167], v[194:195]
	v_add_f64 v[154:155], v[170:171], -v[190:191]
	v_add_f64 v[166:167], v[182:183], v[186:187]
	v_add_f64 v[170:171], v[186:187], -v[182:183]
	v_fma_f64 v[76:77], v[78:79], v[152:153], v[76:77]
	v_add_f64 v[78:79], v[164:165], v[192:193]
	v_add_f64 v[152:153], v[168:169], -v[188:189]
	v_add_f64 v[164:165], v[180:181], v[184:185]
	v_add_f64 v[168:169], v[184:185], -v[180:181]
	v_add_f64 v[178:179], v[102:103], v[92:93]
	v_add_f64 v[182:183], v[102:103], -v[92:93]
	v_add_f64 v[92:93], v[92:93], -v[166:167]
	v_add_f64 v[102:103], v[166:167], -v[102:103]
	v_add_f64 v[186:187], v[170:171], v[154:155]
	v_add_f64 v[190:191], v[170:171], -v[154:155]
	v_add_f64 v[194:195], v[154:155], -v[96:97]
	;; [unrolled: 1-line block ×3, first 2 shown]
	v_add_f64 v[176:177], v[98:99], v[78:79]
	v_add_f64 v[180:181], v[98:99], -v[78:79]
	v_add_f64 v[78:79], v[78:79], -v[164:165]
	;; [unrolled: 1-line block ×4, first 2 shown]
	v_add_f64 v[166:167], v[166:167], v[178:179]
	v_add_f64 v[184:185], v[168:169], v[152:153]
	v_add_f64 v[168:169], v[94:95], -v[168:169]
	v_add_f64 v[192:193], v[152:153], -v[94:95]
	v_add_f64 v[96:97], v[186:187], v[96:97]
	v_mul_f64 v[178:179], v[190:191], s[18:19]
	v_mul_f64 v[186:187], v[194:195], s[10:11]
	v_add_f64 v[164:165], v[164:165], v[176:177]
	v_mul_f64 v[78:79], v[78:79], s[22:23]
	v_mul_f64 v[176:177], v[188:189], s[18:19]
	v_add_f64 v[154:155], v[82:83], v[166:167]
	v_mul_f64 v[82:83], v[98:99], s[14:15]
	v_add_f64 v[94:95], v[184:185], v[94:95]
	;; [unrolled: 2-line block ×3, first 2 shown]
	v_mul_f64 v[80:81], v[92:93], s[22:23]
	v_mul_f64 v[92:93], v[102:103], s[14:15]
	v_fma_f64 v[98:99], v[98:99], s[14:15], v[78:79]
	v_fma_f64 v[78:79], v[180:181], s[16:17], -v[78:79]
	v_fma_f64 v[166:167], v[166:167], s[24:25], v[154:155]
	v_fma_f64 v[82:83], v[180:181], s[12:13], -v[82:83]
	;; [unrolled: 2-line block ×3, first 2 shown]
	v_fma_f64 v[168:169], v[168:169], s[28:29], -v[184:185]
	v_fma_f64 v[164:165], v[164:165], s[24:25], v[152:153]
	v_fma_f64 v[102:103], v[102:103], s[14:15], v[80:81]
	v_fma_f64 v[92:93], v[182:183], s[12:13], -v[92:93]
	v_fma_f64 v[80:81], v[182:183], s[16:17], -v[80:81]
	v_fma_f64 v[182:183], v[170:171], s[26:27], v[178:179]
	v_fma_f64 v[178:179], v[194:195], s[10:11], -v[178:179]
	v_fma_f64 v[170:171], v[170:171], s[28:29], -v[186:187]
	v_add_f64 v[98:99], v[98:99], v[164:165]
	v_add_f64 v[102:103], v[102:103], v[166:167]
	;; [unrolled: 1-line block ×6, first 2 shown]
	v_fma_f64 v[166:167], v[94:95], s[20:21], v[180:181]
	v_fma_f64 v[180:181], v[96:97], s[20:21], v[182:183]
	;; [unrolled: 1-line block ×6, first 2 shown]
	v_add_f64 v[178:179], v[102:103], -v[166:167]
	v_add_f64 v[176:177], v[180:181], v[98:99]
	v_add_f64 v[218:219], v[182:183], v[92:93]
	v_add_f64 v[216:217], v[82:83], -v[80:81]
	v_add_f64 v[196:197], v[96:97], v[78:79]
	v_add_f64 v[80:81], v[80:81], v[82:83]
	v_add_f64 v[82:83], v[92:93], -v[182:183]
	v_add_f64 v[92:93], v[78:79], -v[96:97]
	;; [unrolled: 1-line block ×3, first 2 shown]
	v_add_f64 v[98:99], v[166:167], v[102:103]
	v_add_f64 v[78:79], v[156:157], v[106:107]
	;; [unrolled: 1-line block ×3, first 2 shown]
	v_add_f64 v[106:107], v[156:157], -v[106:107]
	v_add_f64 v[100:101], v[160:161], -v[100:101]
	v_add_f64 v[156:157], v[142:143], v[162:163]
	v_add_f64 v[160:161], v[120:121], v[104:105]
	v_add_f64 v[142:143], v[142:143], -v[162:163]
	v_add_f64 v[104:105], v[120:121], -v[104:105]
	v_add_f64 v[120:121], v[138:139], v[122:123]
	v_add_f64 v[162:163], v[140:141], v[158:159]
	v_add_f64 v[122:123], v[122:123], -v[138:139]
	v_add_f64 v[138:139], v[158:159], -v[140:141]
	;; [unrolled: 1-line block ×3, first 2 shown]
	v_add_f64 v[94:95], v[94:95], v[164:165]
	v_add_f64 v[140:141], v[156:157], v[78:79]
	v_add_f64 v[158:159], v[160:161], v[102:103]
	v_add_f64 v[164:165], v[156:157], -v[78:79]
	v_add_f64 v[166:167], v[160:161], -v[102:103]
	;; [unrolled: 1-line block ×6, first 2 shown]
	v_add_f64 v[168:169], v[122:123], v[142:143]
	v_add_f64 v[170:171], v[138:139], v[104:105]
	v_add_f64 v[180:181], v[122:123], -v[142:143]
	v_add_f64 v[182:183], v[138:139], -v[104:105]
	;; [unrolled: 1-line block ×6, first 2 shown]
	v_add_f64 v[120:121], v[120:121], v[140:141]
	v_add_f64 v[140:141], v[162:163], v[158:159]
	v_mul_f64 v[78:79], v[78:79], s[22:23]
	v_mul_f64 v[102:103], v[102:103], s[22:23]
	;; [unrolled: 1-line block ×4, first 2 shown]
	v_add_f64 v[106:107], v[168:169], v[106:107]
	v_add_f64 v[100:101], v[170:171], v[100:101]
	v_mul_f64 v[168:169], v[180:181], s[18:19]
	v_mul_f64 v[170:171], v[182:183], s[18:19]
	;; [unrolled: 1-line block ×4, first 2 shown]
	v_add_f64 v[148:149], v[148:149], v[120:121]
	v_add_f64 v[150:151], v[150:151], v[140:141]
	v_fma_f64 v[156:157], v[156:157], s[14:15], v[78:79]
	v_fma_f64 v[160:161], v[160:161], s[14:15], v[102:103]
	v_fma_f64 v[158:159], v[164:165], s[12:13], -v[158:159]
	v_fma_f64 v[162:163], v[166:167], s[12:13], -v[162:163]
	;; [unrolled: 1-line block ×4, first 2 shown]
	v_fma_f64 v[164:165], v[122:123], s[26:27], v[168:169]
	v_fma_f64 v[166:167], v[138:139], s[26:27], v[170:171]
	v_fma_f64 v[122:123], v[122:123], s[28:29], -v[180:181]
	v_fma_f64 v[138:139], v[138:139], s[28:29], -v[182:183]
	;; [unrolled: 1-line block ×4, first 2 shown]
	v_fma_f64 v[120:121], v[120:121], s[24:25], v[148:149]
	v_fma_f64 v[140:141], v[140:141], s[24:25], v[150:151]
	;; [unrolled: 1-line block ×4, first 2 shown]
	s_delay_alu instid0(VALU_DEP_4)
	v_add_f64 v[156:157], v[156:157], v[120:121]
	v_add_f64 v[158:159], v[158:159], v[120:121]
	;; [unrolled: 1-line block ×6, first 2 shown]
	v_fma_f64 v[140:141], v[106:107], s[20:21], v[164:165]
	v_fma_f64 v[102:103], v[106:107], s[20:21], v[142:143]
	;; [unrolled: 1-line block ×4, first 2 shown]
	v_add_f64 v[104:105], v[138:139], v[78:79]
	v_add_f64 v[106:107], v[120:121], -v[122:123]
	v_add_f64 v[188:189], v[78:79], -v[138:139]
	v_add_f64 v[190:191], v[122:123], v[120:121]
	v_add_f64 v[120:121], v[128:129], v[136:137]
	;; [unrolled: 1-line block ×3, first 2 shown]
	v_add_f64 v[136:137], v[128:129], -v[136:137]
	v_add_f64 v[122:123], v[130:131], -v[76:77]
	v_add_f64 v[128:129], v[124:125], v[132:133]
	v_add_f64 v[130:131], v[126:127], v[134:135]
	v_add_f64 v[182:183], v[160:161], -v[140:141]
	v_add_f64 v[184:185], v[158:159], -v[142:143]
	v_add_f64 v[100:101], v[142:143], v[158:159]
	v_add_f64 v[194:195], v[140:141], v[160:161]
	;; [unrolled: 4-line block ×4, first 2 shown]
	v_add_f64 v[102:103], v[162:163], -v[102:103]
	v_add_f64 v[192:193], v[156:157], -v[164:165]
	ds_store_b128 v172, v[152:155]
	ds_store_b128 v172, v[176:179] offset:2880
	ds_store_b128 v172, v[196:199] offset:5760
	;; [unrolled: 1-line block ×13, first 2 shown]
	v_add_f64 v[140:141], v[128:129], v[120:121]
	v_add_f64 v[142:143], v[130:131], v[138:139]
	v_add_f64 v[156:157], v[120:121], -v[76:77]
	v_add_f64 v[158:159], v[138:139], -v[78:79]
	;; [unrolled: 1-line block ×4, first 2 shown]
	v_add_f64 v[160:161], v[126:127], v[132:133]
	v_add_f64 v[162:163], v[134:135], v[124:125]
	v_add_f64 v[118:119], v[126:127], -v[132:133]
	v_add_f64 v[110:111], v[134:135], -v[124:125]
	;; [unrolled: 1-line block ×4, first 2 shown]
	v_add_f64 v[76:77], v[76:77], v[140:141]
	v_add_f64 v[78:79], v[78:79], v[142:143]
	v_mul_f64 v[168:169], v[158:159], s[22:23]
	v_add_f64 v[166:167], v[160:161], v[136:137]
	v_add_f64 v[164:165], v[162:163], v[122:123]
	v_mul_f64 v[160:161], v[156:157], s[22:23]
	v_mul_f64 v[170:171], v[126:127], s[26:27]
	;; [unrolled: 1-line block ×3, first 2 shown]
	v_add_f64 v[144:145], v[144:145], v[76:77]
	v_add_f64 v[146:147], v[146:147], v[78:79]
	s_delay_alu instid0(VALU_DEP_4) | instskip(NEXT) | instid1(VALU_DEP_4)
	v_fma_f64 v[134:135], v[118:119], s[18:19], v[170:171]
	v_fma_f64 v[174:175], v[110:111], s[18:19], v[162:163]
	s_delay_alu instid0(VALU_DEP_4) | instskip(NEXT) | instid1(VALU_DEP_4)
	v_fma_f64 v[156:157], v[76:77], s[24:25], v[144:145]
	v_fma_f64 v[158:159], v[78:79], s[24:25], v[146:147]
	;; [unrolled: 1-line block ×6, first 2 shown]
	s_delay_alu instid0(VALU_DEP_4) | instskip(NEXT) | instid1(VALU_DEP_4)
	v_add_f64 v[126:127], v[76:77], v[156:157]
	v_add_f64 v[140:141], v[78:79], v[158:159]
	s_delay_alu instid0(VALU_DEP_2) | instskip(NEXT) | instid1(VALU_DEP_2)
	v_add_f64 v[76:77], v[126:127], -v[134:135]
	v_add_f64 v[78:79], v[142:143], v[140:141]
	s_and_saveexec_b32 s1, s0
	s_cbranch_execz .LBB0_13
; %bb.12:
	v_add_f64 v[80:81], v[132:133], -v[136:137]
	v_add_f64 v[82:83], v[130:131], -v[138:139]
	v_mul_f64 v[92:93], v[116:117], s[14:15]
	v_mul_f64 v[94:95], v[118:119], s[18:19]
	v_add_f64 v[96:97], v[128:129], -v[120:121]
	v_add_f64 v[98:99], v[124:125], -v[122:123]
	v_mul_f64 v[100:101], v[108:109], s[14:15]
	v_mul_f64 v[102:103], v[110:111], s[18:19]
	s_mov_b32 s15, 0xbfebfeb5
	s_mov_b32 s14, s10
	v_mul_f64 v[104:105], v[166:167], s[20:21]
	v_mul_f64 v[106:107], v[164:165], s[20:21]
	v_fma_f64 v[108:109], v[80:81], s[14:15], -v[170:171]
	v_fma_f64 v[110:111], v[82:83], s[16:17], -v[168:169]
	;; [unrolled: 1-line block ×8, first 2 shown]
	v_add_f64 v[100:101], v[104:105], v[108:109]
	v_add_f64 v[108:109], v[110:111], v[158:159]
	;; [unrolled: 1-line block ×8, first 2 shown]
	v_add_f64 v[82:83], v[140:141], -v[142:143]
	v_add_f64 v[80:81], v[134:135], v[126:127]
	v_add_f64 v[106:107], v[108:109], -v[100:101]
	v_add_f64 v[94:95], v[100:101], v[108:109]
	;; [unrolled: 2-line block ×3, first 2 shown]
	v_add_f64 v[104:105], v[110:111], v[92:93]
	v_add_f64 v[92:93], v[92:93], -v[110:111]
	v_add_f64 v[100:101], v[96:97], -v[116:117]
	v_add_f64 v[96:97], v[116:117], v[96:97]
	ds_store_b128 v172, v[144:147] offset:2016
	ds_store_b128 v172, v[80:83] offset:4896
	;; [unrolled: 1-line block ×7, first 2 shown]
.LBB0_13:
	s_or_b32 exec_lo, exec_lo, s1
	v_lshlrev_b32_e32 v80, 4, v173
	s_waitcnt lgkmcnt(0)
	s_waitcnt_vscnt null, 0x0
	s_barrier
	buffer_gl0_inv
	ds_load_b128 v[98:101], v172 offset:10080
	v_add_co_u32 v106, s1, s8, v80
	s_delay_alu instid0(VALU_DEP_1) | instskip(SKIP_1) | instid1(VALU_DEP_3)
	v_add_co_ci_u32_e64 v107, null, s9, 0, s1
	v_lshlrev_b32_e32 v174, 5, v173
	v_add_co_u32 v80, s1, 0x4000, v106
	s_delay_alu instid0(VALU_DEP_1) | instskip(SKIP_1) | instid1(VALU_DEP_1)
	v_add_co_ci_u32_e64 v81, s1, 0, v107, s1
	v_add_co_u32 v104, s1, 0x7000, v106
	v_add_co_ci_u32_e64 v105, s1, 0, v107, s1
	global_load_b128 v[92:95], v[80:81], off offset:3776
	ds_load_b128 v[80:83], v172
	ds_load_b128 v[108:111], v172 offset:1008
	v_add_co_u32 v116, s1, 0x4ec0, v106
	s_delay_alu instid0(VALU_DEP_1) | instskip(SKIP_1) | instid1(VALU_DEP_1)
	v_add_co_ci_u32_e64 v117, s1, 0, v107, s1
	v_add_co_u32 v128, s1, 0x8000, v106
	v_add_co_ci_u32_e64 v129, s1, 0, v107, s1
	v_add_co_u32 v140, s1, 0x6000, v106
	s_delay_alu instid0(VALU_DEP_1) | instskip(SKIP_1) | instid1(VALU_DEP_1)
	v_add_co_ci_u32_e64 v141, s1, 0, v107, s1
	v_add_co_u32 v166, s1, 0x9000, v106
	v_add_co_ci_u32_e64 v167, s1, 0, v107, s1
	ds_load_b128 v[160:163], v172 offset:18144
	s_waitcnt vmcnt(0) lgkmcnt(2)
	v_mul_f64 v[96:97], v[82:83], v[94:95]
	v_mul_f64 v[94:95], v[80:81], v[94:95]
	s_delay_alu instid0(VALU_DEP_2) | instskip(NEXT) | instid1(VALU_DEP_2)
	v_fma_f64 v[80:81], v[80:81], v[92:93], -v[96:97]
	v_fma_f64 v[82:83], v[82:83], v[92:93], v[94:95]
	global_load_b128 v[94:97], v[104:105], off offset:1568
	s_waitcnt vmcnt(0)
	v_mul_f64 v[92:93], v[100:101], v[96:97]
	v_mul_f64 v[96:97], v[98:99], v[96:97]
	s_delay_alu instid0(VALU_DEP_2) | instskip(NEXT) | instid1(VALU_DEP_2)
	v_fma_f64 v[92:93], v[98:99], v[94:95], -v[92:93]
	v_fma_f64 v[94:95], v[100:101], v[94:95], v[96:97]
	global_load_b128 v[98:101], v[116:117], off offset:1008
	s_waitcnt vmcnt(0) lgkmcnt(1)
	v_mul_f64 v[96:97], v[110:111], v[100:101]
	v_mul_f64 v[100:101], v[108:109], v[100:101]
	s_delay_alu instid0(VALU_DEP_2) | instskip(NEXT) | instid1(VALU_DEP_2)
	v_fma_f64 v[96:97], v[108:109], v[98:99], -v[96:97]
	v_fma_f64 v[98:99], v[110:111], v[98:99], v[100:101]
	global_load_b128 v[100:103], v[104:105], off offset:2576
	ds_load_b128 v[108:111], v172 offset:11088
	s_waitcnt vmcnt(0) lgkmcnt(0)
	v_mul_f64 v[118:119], v[110:111], v[102:103]
	v_mul_f64 v[102:103], v[108:109], v[102:103]
	s_delay_alu instid0(VALU_DEP_2) | instskip(NEXT) | instid1(VALU_DEP_2)
	v_fma_f64 v[144:145], v[108:109], v[100:101], -v[118:119]
	v_fma_f64 v[146:147], v[110:111], v[100:101], v[102:103]
	global_load_b128 v[100:103], v[116:117], off offset:2016
	ds_load_b128 v[108:111], v172 offset:2016
	;; [unrolled: 8-line block ×14, first 2 shown]
	s_waitcnt vmcnt(0) lgkmcnt(0)
	v_mul_f64 v[106:107], v[142:143], v[138:139]
	v_mul_f64 v[156:157], v[140:141], v[138:139]
	s_delay_alu instid0(VALU_DEP_2) | instskip(NEXT) | instid1(VALU_DEP_2)
	v_fma_f64 v[138:139], v[140:141], v[136:137], -v[106:107]
	v_fma_f64 v[140:141], v[142:143], v[136:137], v[156:157]
	global_load_b128 v[156:159], v[166:167], off offset:1440
	s_waitcnt vmcnt(0)
	v_mul_f64 v[106:107], v[162:163], v[158:159]
	v_mul_f64 v[136:137], v[160:161], v[158:159]
	s_delay_alu instid0(VALU_DEP_2)
	v_fma_f64 v[158:159], v[160:161], v[156:157], -v[106:107]
	global_load_b128 v[104:107], v[104:105], off offset:560
	v_fma_f64 v[160:161], v[162:163], v[156:157], v[136:137]
	ds_load_b128 v[162:165], v172 offset:9072
	s_waitcnt vmcnt(0) lgkmcnt(0)
	v_mul_f64 v[136:137], v[164:165], v[106:107]
	v_mul_f64 v[106:107], v[162:163], v[106:107]
	s_delay_alu instid0(VALU_DEP_2) | instskip(NEXT) | instid1(VALU_DEP_2)
	v_fma_f64 v[162:163], v[162:163], v[104:105], -v[136:137]
	v_fma_f64 v[164:165], v[164:165], v[104:105], v[106:107]
	global_load_b128 v[104:107], v[166:167], off offset:2448
	ds_load_b128 v[166:169], v172 offset:19152
	s_waitcnt vmcnt(0) lgkmcnt(0)
	v_mul_f64 v[136:137], v[168:169], v[106:107]
	v_mul_f64 v[106:107], v[166:167], v[106:107]
	s_delay_alu instid0(VALU_DEP_2) | instskip(NEXT) | instid1(VALU_DEP_2)
	v_fma_f64 v[166:167], v[166:167], v[104:105], -v[136:137]
	v_fma_f64 v[168:169], v[168:169], v[104:105], v[106:107]
	ds_store_b128 v172, v[80:83]
	ds_store_b128 v172, v[92:95] offset:10080
	ds_store_b128 v172, v[96:99] offset:1008
	;; [unrolled: 1-line block ×19, first 2 shown]
	s_waitcnt lgkmcnt(0)
	s_barrier
	buffer_gl0_inv
	ds_load_b128 v[80:83], v172
	ds_load_b128 v[92:95], v172 offset:10080
	ds_load_b128 v[96:99], v172 offset:1008
	;; [unrolled: 1-line block ×19, first 2 shown]
	s_waitcnt lgkmcnt(0)
	s_barrier
	buffer_gl0_inv
	v_add_f64 v[92:93], v[80:81], -v[92:93]
	v_add_f64 v[94:95], v[82:83], -v[94:95]
	s_delay_alu instid0(VALU_DEP_2) | instskip(NEXT) | instid1(VALU_DEP_2)
	v_fma_f64 v[80:81], v[80:81], 2.0, -v[92:93]
	v_fma_f64 v[82:83], v[82:83], 2.0, -v[94:95]
	ds_store_b128 v174, v[92:95] offset:16
	ds_store_b128 v174, v[80:83]
	v_add_f64 v[80:81], v[96:97], -v[100:101]
	v_add_f64 v[82:83], v[98:99], -v[102:103]
	s_delay_alu instid0(VALU_DEP_2)
	v_fma_f64 v[92:93], v[96:97], 2.0, -v[80:81]
	scratch_load_b32 v96, off, off offset:652 ; 4-byte Folded Reload
	v_fma_f64 v[94:95], v[98:99], 2.0, -v[82:83]
	v_add_f64 v[98:99], v[166:167], -v[170:171]
	s_waitcnt vmcnt(0)
	ds_store_b128 v96, v[92:95]
	ds_store_b128 v96, v[80:83] offset:16
	scratch_load_b32 v96, off, off offset:644 ; 4-byte Folded Reload
	v_add_f64 v[80:81], v[104:105], -v[108:109]
	v_add_f64 v[82:83], v[106:107], -v[110:111]
	v_fma_f64 v[110:111], v[166:167], 2.0, -v[98:99]
	s_delay_alu instid0(VALU_DEP_3) | instskip(NEXT) | instid1(VALU_DEP_3)
	v_fma_f64 v[92:93], v[104:105], 2.0, -v[80:81]
	v_fma_f64 v[94:95], v[106:107], 2.0, -v[82:83]
	s_waitcnt vmcnt(0)
	ds_store_b128 v96, v[92:95]
	ds_store_b128 v96, v[80:83] offset:16
	scratch_load_b32 v96, off, off offset:632 ; 4-byte Folded Reload
	v_add_f64 v[80:81], v[116:117], -v[120:121]
	v_add_f64 v[82:83], v[118:119], -v[122:123]
	s_delay_alu instid0(VALU_DEP_2) | instskip(NEXT) | instid1(VALU_DEP_2)
	v_fma_f64 v[92:93], v[116:117], 2.0, -v[80:81]
	v_fma_f64 v[94:95], v[118:119], 2.0, -v[82:83]
	s_waitcnt vmcnt(0)
	ds_store_b128 v96, v[92:95]
	ds_store_b128 v96, v[80:83] offset:16
	scratch_load_b32 v96, off, off offset:628 ; 4-byte Folded Reload
	v_add_f64 v[80:81], v[124:125], -v[128:129]
	v_add_f64 v[82:83], v[126:127], -v[130:131]
	s_delay_alu instid0(VALU_DEP_2) | instskip(NEXT) | instid1(VALU_DEP_2)
	;; [unrolled: 9-line block ×4, first 2 shown]
	v_fma_f64 v[92:93], v[140:141], 2.0, -v[80:81]
	v_fma_f64 v[94:95], v[142:143], 2.0, -v[82:83]
	s_waitcnt vmcnt(0)
	ds_store_b128 v96, v[92:95]
	ds_store_b128 v96, v[80:83] offset:16
	scratch_load_b32 v116, off, off offset:572 ; 4-byte Folded Reload
	v_add_f64 v[80:81], v[148:149], -v[152:153]
	v_add_f64 v[82:83], v[150:151], -v[154:155]
	;; [unrolled: 1-line block ×5, first 2 shown]
	v_fma_f64 v[100:101], v[148:149], 2.0, -v[80:81]
	v_fma_f64 v[102:103], v[150:151], 2.0, -v[82:83]
	;; [unrolled: 1-line block ×5, first 2 shown]
	s_waitcnt vmcnt(0)
	ds_store_b128 v116, v[100:103]
	ds_store_b128 v116, v[80:83] offset:16
	scratch_load_b32 v80, off, off offset:624 ; 4-byte Folded Reload
	s_waitcnt vmcnt(0)
	ds_store_b128 v80, v[104:107]
	ds_store_b128 v80, v[92:95] offset:16
	scratch_load_b32 v80, off, off offset:560 ; 4-byte Folded Reload
	s_waitcnt vmcnt(0)
	ds_store_b128 v80, v[108:111]
	ds_store_b128 v80, v[96:99] offset:16
	s_waitcnt lgkmcnt(0)
	s_barrier
	buffer_gl0_inv
	ds_load_b128 v[80:83], v172 offset:13104
	ds_load_b128 v[92:95], v172 offset:15120
	s_clause 0x1
	scratch_load_b128 v[116:119], off, off offset:420
	scratch_load_b128 v[120:123], off, off offset:396
	ds_load_b128 v[96:99], v172 offset:17136
	ds_load_b128 v[100:103], v172 offset:10080
	s_waitcnt vmcnt(1) lgkmcnt(3)
	v_mul_f64 v[104:105], v[118:119], v[82:83]
	v_mul_f64 v[106:107], v[118:119], v[80:81]
	s_delay_alu instid0(VALU_DEP_2) | instskip(NEXT) | instid1(VALU_DEP_2)
	v_fma_f64 v[132:133], v[116:117], v[80:81], v[104:105]
	v_fma_f64 v[134:135], v[116:117], v[82:83], -v[106:107]
	ds_load_b128 v[80:83], v172 offset:12096
	scratch_load_b128 v[116:119], off, off offset:380 ; 16-byte Folded Reload
	s_waitcnt vmcnt(1) lgkmcnt(3)
	v_mul_f64 v[108:109], v[122:123], v[94:95]
	v_mul_f64 v[110:111], v[122:123], v[92:93]
	s_delay_alu instid0(VALU_DEP_2) | instskip(SKIP_2) | instid1(VALU_DEP_3)
	v_fma_f64 v[136:137], v[120:121], v[92:93], v[108:109]
	s_waitcnt lgkmcnt(1)
	v_mul_f64 v[108:109], v[86:87], v[102:103]
	v_fma_f64 v[138:139], v[120:121], v[94:95], -v[110:111]
	ds_load_b128 v[92:95], v172 offset:14112
	v_mul_f64 v[110:111], v[86:87], v[100:101]
	v_fma_f64 v[100:101], v[84:85], v[100:101], v[108:109]
	s_delay_alu instid0(VALU_DEP_2) | instskip(SKIP_3) | instid1(VALU_DEP_2)
	v_fma_f64 v[102:103], v[84:85], v[102:103], -v[110:111]
	s_waitcnt vmcnt(0)
	v_mul_f64 v[104:105], v[118:119], v[98:99]
	v_mul_f64 v[106:107], v[118:119], v[96:97]
	v_fma_f64 v[140:141], v[116:117], v[96:97], v[104:105]
	s_delay_alu instid0(VALU_DEP_2)
	v_fma_f64 v[142:143], v[116:117], v[98:99], -v[106:107]
	ds_load_b128 v[96:99], v172 offset:16128
	s_waitcnt lgkmcnt(2)
	v_mul_f64 v[104:105], v[86:87], v[82:83]
	v_mul_f64 v[106:107], v[86:87], v[80:81]
	s_waitcnt lgkmcnt(1)
	v_mul_f64 v[108:109], v[86:87], v[94:95]
	v_mul_f64 v[110:111], v[86:87], v[92:93]
	s_delay_alu instid0(VALU_DEP_4) | instskip(NEXT) | instid1(VALU_DEP_4)
	v_fma_f64 v[144:145], v[84:85], v[80:81], v[104:105]
	v_fma_f64 v[146:147], v[84:85], v[82:83], -v[106:107]
	ds_load_b128 v[80:83], v172 offset:18144
	v_fma_f64 v[148:149], v[84:85], v[92:93], v[108:109]
	v_fma_f64 v[150:151], v[84:85], v[94:95], -v[110:111]
	s_waitcnt lgkmcnt(1)
	v_mul_f64 v[104:105], v[86:87], v[98:99]
	v_mul_f64 v[106:107], v[86:87], v[96:97]
	s_waitcnt lgkmcnt(0)
	v_mul_f64 v[92:93], v[86:87], v[82:83]
	v_mul_f64 v[86:87], v[86:87], v[80:81]
	s_delay_alu instid0(VALU_DEP_4) | instskip(NEXT) | instid1(VALU_DEP_4)
	v_fma_f64 v[152:153], v[84:85], v[96:97], v[104:105]
	v_fma_f64 v[154:155], v[84:85], v[98:99], -v[106:107]
	s_delay_alu instid0(VALU_DEP_4)
	v_fma_f64 v[156:157], v[84:85], v[80:81], v[92:93]
	scratch_load_b128 v[92:95], off, off offset:328 ; 16-byte Folded Reload
	v_fma_f64 v[158:159], v[84:85], v[82:83], -v[86:87]
	ds_load_b128 v[80:83], v172 offset:11088
	s_waitcnt vmcnt(0) lgkmcnt(0)
	v_mul_f64 v[84:85], v[94:95], v[82:83]
	v_mul_f64 v[86:87], v[94:95], v[80:81]
	scratch_load_b64 v[94:95], off, off offset:364 ; 8-byte Folded Reload
	s_waitcnt vmcnt(0)
	v_fma_f64 v[162:163], v[94:95], v[82:83], -v[86:87]
	scratch_load_b64 v[86:87], off, off offset:352 ; 8-byte Folded Reload
	v_fma_f64 v[160:161], v[94:95], v[80:81], v[84:85]
	ds_load_b128 v[80:83], v172 offset:19152
	s_waitcnt vmcnt(0) lgkmcnt(0)
	v_mul_f64 v[84:85], v[86:87], v[82:83]
	v_mul_f64 v[86:87], v[86:87], v[80:81]
	s_delay_alu instid0(VALU_DEP_2) | instskip(NEXT) | instid1(VALU_DEP_2)
	v_fma_f64 v[164:165], v[92:93], v[80:81], v[84:85]
	v_fma_f64 v[166:167], v[92:93], v[82:83], -v[86:87]
	ds_load_b128 v[80:83], v172
	s_waitcnt lgkmcnt(0)
	v_add_f64 v[84:85], v[80:81], -v[100:101]
	v_add_f64 v[86:87], v[82:83], -v[102:103]
	ds_load_b128 v[92:95], v172 offset:1008
	ds_load_b128 v[96:99], v172 offset:2016
	;; [unrolled: 1-line block ×9, first 2 shown]
	s_waitcnt lgkmcnt(0)
	s_barrier
	buffer_gl0_inv
	scratch_load_b32 v168, off, off offset:344 ; 4-byte Folded Reload
	v_add_f64 v[140:141], v[120:121], -v[140:141]
	v_add_f64 v[142:143], v[122:123], -v[142:143]
	v_fma_f64 v[80:81], v[80:81], 2.0, -v[84:85]
	v_fma_f64 v[82:83], v[82:83], 2.0, -v[86:87]
	s_waitcnt vmcnt(0)
	ds_store_b128 v168, v[84:87] offset:32
	ds_store_b128 v168, v[80:83]
	v_add_f64 v[80:81], v[92:93], -v[160:161]
	v_add_f64 v[82:83], v[94:95], -v[162:163]
	v_fma_f64 v[120:121], v[120:121], 2.0, -v[140:141]
	v_fma_f64 v[122:123], v[122:123], 2.0, -v[142:143]
	s_delay_alu instid0(VALU_DEP_4)
	v_fma_f64 v[84:85], v[92:93], 2.0, -v[80:81]
	scratch_load_b32 v92, off, off offset:444 ; 4-byte Folded Reload
	v_fma_f64 v[86:87], v[94:95], 2.0, -v[82:83]
	s_waitcnt vmcnt(0)
	ds_store_b128 v92, v[84:87]
	ds_store_b128 v92, v[80:83] offset:32
	scratch_load_b32 v92, off, off offset:440 ; 4-byte Folded Reload
	v_add_f64 v[80:81], v[96:97], -v[144:145]
	v_add_f64 v[82:83], v[98:99], -v[146:147]
	;; [unrolled: 1-line block ×4, first 2 shown]
	s_delay_alu instid0(VALU_DEP_4) | instskip(NEXT) | instid1(VALU_DEP_4)
	v_fma_f64 v[84:85], v[96:97], 2.0, -v[80:81]
	v_fma_f64 v[86:87], v[98:99], 2.0, -v[82:83]
	v_add_f64 v[96:97], v[104:105], -v[148:149]
	v_add_f64 v[98:99], v[106:107], -v[150:151]
	v_fma_f64 v[124:125], v[124:125], 2.0, -v[144:145]
	v_fma_f64 v[126:127], v[126:127], 2.0, -v[146:147]
	s_waitcnt vmcnt(0)
	ds_store_b128 v92, v[84:87]
	ds_store_b128 v92, v[80:83] offset:32
	v_add_f64 v[84:85], v[100:101], -v[132:133]
	v_add_f64 v[86:87], v[102:103], -v[134:135]
	;; [unrolled: 1-line block ×6, first 2 shown]
	v_fma_f64 v[92:93], v[100:101], 2.0, -v[84:85]
	v_fma_f64 v[100:101], v[104:105], 2.0, -v[96:97]
	v_add_f64 v[104:105], v[128:129], -v[164:165]
	v_fma_f64 v[94:95], v[102:103], 2.0, -v[86:87]
	v_fma_f64 v[102:103], v[106:107], 2.0, -v[98:99]
	;; [unrolled: 1-line block ×6, first 2 shown]
	v_add_f64 v[106:107], v[130:131], -v[166:167]
	v_fma_f64 v[80:81], v[128:129], 2.0, -v[104:105]
	scratch_load_b32 v128, off, off offset:436 ; 4-byte Folded Reload
	s_waitcnt vmcnt(0)
	ds_store_b128 v128, v[92:95]
	ds_store_b128 v128, v[84:87] offset:32
	scratch_load_b32 v84, off, off offset:416 ; 4-byte Folded Reload
	v_fma_f64 v[82:83], v[130:131], 2.0, -v[106:107]
	s_waitcnt vmcnt(0)
	ds_store_b128 v84, v[100:103]
	ds_store_b128 v84, v[96:99] offset:32
	scratch_load_b32 v84, off, off offset:412 ; 4-byte Folded Reload
	s_waitcnt vmcnt(0)
	ds_store_b128 v84, v[108:111]
	ds_store_b128 v84, v[132:135] offset:32
	scratch_load_b32 v84, off, off offset:376 ; 4-byte Folded Reload
	;; [unrolled: 4-line block ×5, first 2 shown]
	s_waitcnt vmcnt(0)
	ds_store_b128 v84, v[80:83]
	ds_store_b128 v84, v[104:107] offset:32
	s_waitcnt lgkmcnt(0)
	s_barrier
	buffer_gl0_inv
	ds_load_b128 v[148:151], v172
	ds_load_b128 v[120:123], v172 offset:6720
	ds_load_b128 v[108:111], v172 offset:13440
	;; [unrolled: 1-line block ×17, first 2 shown]
	s_and_saveexec_b32 s1, vcc_lo
	s_cbranch_execz .LBB0_15
; %bb.14:
	ds_load_b128 v[80:83], v172 offset:6048
	ds_load_b128 v[104:107], v172 offset:12768
	;; [unrolled: 1-line block ×3, first 2 shown]
.LBB0_15:
	s_or_b32 exec_lo, exec_lo, s1
	scratch_load_b128 v[158:161], off, off offset:576 ; 16-byte Folded Reload
	s_mov_b32 s8, 0xe8584caa
	s_mov_b32 s9, 0xbfebb67a
	;; [unrolled: 1-line block ×4, first 2 shown]
	scratch_load_b128 v[162:165], off, off offset:528 ; 16-byte Folded Reload
	s_waitcnt vmcnt(1) lgkmcnt(7)
	v_mul_f64 v[156:157], v[160:161], v[142:143]
	s_delay_alu instid0(VALU_DEP_1) | instskip(SKIP_1) | instid1(VALU_DEP_1)
	v_fma_f64 v[156:157], v[158:159], v[140:141], v[156:157]
	v_mul_f64 v[140:141], v[160:161], v[140:141]
	v_fma_f64 v[140:141], v[158:159], v[142:143], -v[140:141]
	scratch_load_b128 v[158:161], off, off offset:600 ; 16-byte Folded Reload
	s_waitcnt vmcnt(0) lgkmcnt(6)
	v_mul_f64 v[142:143], v[160:161], v[138:139]
	s_delay_alu instid0(VALU_DEP_1) | instskip(SKIP_1) | instid1(VALU_DEP_1)
	v_fma_f64 v[142:143], v[158:159], v[136:137], v[142:143]
	v_mul_f64 v[136:137], v[160:161], v[136:137]
	v_fma_f64 v[136:137], v[158:159], v[138:139], -v[136:137]
	v_mul_f64 v[138:139], v[90:91], v[122:123]
	scratch_load_b128 v[158:161], off, off offset:512 ; 16-byte Folded Reload
	v_fma_f64 v[138:139], v[88:89], v[120:121], v[138:139]
	v_mul_f64 v[120:121], v[90:91], v[120:121]
	s_delay_alu instid0(VALU_DEP_1) | instskip(SKIP_3) | instid1(VALU_DEP_2)
	v_fma_f64 v[120:121], v[88:89], v[122:123], -v[120:121]
	s_waitcnt lgkmcnt(4)
	v_mul_f64 v[122:123], v[90:91], v[134:135]
	v_mul_f64 v[90:91], v[90:91], v[132:133]
	v_fma_f64 v[122:123], v[88:89], v[132:133], v[122:123]
	s_delay_alu instid0(VALU_DEP_2) | instskip(SKIP_2) | instid1(VALU_DEP_2)
	v_fma_f64 v[132:133], v[88:89], v[134:135], -v[90:91]
	v_mul_f64 v[88:89], v[114:115], v[110:111]
	v_mul_f64 v[90:91], v[114:115], v[108:109]
	v_fma_f64 v[88:89], v[112:113], v[108:109], v[88:89]
	s_delay_alu instid0(VALU_DEP_2)
	v_fma_f64 v[90:91], v[112:113], v[110:111], -v[90:91]
	s_waitcnt lgkmcnt(3)
	v_mul_f64 v[108:109], v[114:115], v[126:127]
	v_mul_f64 v[110:111], v[114:115], v[124:125]
	scratch_load_b64 v[114:115], off, off offset:592 ; 8-byte Folded Reload
	v_fma_f64 v[108:109], v[112:113], v[124:125], v[108:109]
	v_fma_f64 v[110:111], v[112:113], v[126:127], -v[110:111]
	scratch_load_b128 v[124:127], off, off offset:544 ; 16-byte Folded Reload
	s_waitcnt vmcnt(1) lgkmcnt(0)
	v_mul_f64 v[112:113], v[114:115], v[130:131]
	v_mul_f64 v[114:115], v[114:115], v[128:129]
	s_waitcnt vmcnt(0)
	s_delay_alu instid0(VALU_DEP_2) | instskip(NEXT) | instid1(VALU_DEP_2)
	v_fma_f64 v[128:129], v[124:125], v[128:129], v[112:113]
	v_fma_f64 v[130:131], v[124:125], v[130:131], -v[114:115]
	v_mul_f64 v[112:113], v[126:127], v[218:219]
	v_mul_f64 v[114:115], v[126:127], v[216:217]
	;; [unrolled: 1-line block ×4, first 2 shown]
	s_delay_alu instid0(VALU_DEP_4) | instskip(NEXT) | instid1(VALU_DEP_4)
	v_fma_f64 v[112:113], v[160:161], v[216:217], v[112:113]
	v_fma_f64 v[114:115], v[160:161], v[218:219], -v[114:115]
	scratch_load_b128 v[158:161], off, off offset:480 ; 16-byte Folded Reload
	s_waitcnt vmcnt(0)
	v_fma_f64 v[134:135], v[158:159], v[116:117], v[124:125]
	v_fma_f64 v[158:159], v[158:159], v[118:119], -v[126:127]
	s_clause 0x1
	scratch_load_b64 v[124:125], off, off offset:456
	scratch_load_b64 v[126:127], off, off offset:564
	v_mul_f64 v[116:117], v[160:161], v[198:199]
	v_mul_f64 v[118:119], v[160:161], v[196:197]
	s_waitcnt vmcnt(1)
	s_delay_alu instid0(VALU_DEP_2) | instskip(NEXT) | instid1(VALU_DEP_2)
	v_fma_f64 v[116:117], v[124:125], v[196:197], v[116:117]
	v_fma_f64 v[118:119], v[124:125], v[198:199], -v[118:119]
	s_waitcnt vmcnt(0)
	v_mul_f64 v[124:125], v[126:127], v[78:79]
	v_mul_f64 v[126:127], v[126:127], v[76:77]
	s_delay_alu instid0(VALU_DEP_2) | instskip(NEXT) | instid1(VALU_DEP_2)
	v_fma_f64 v[160:161], v[162:163], v[76:77], v[124:125]
	v_fma_f64 v[162:163], v[162:163], v[78:79], -v[126:127]
	v_mul_f64 v[76:77], v[164:165], v[178:179]
	v_mul_f64 v[78:79], v[164:165], v[176:177]
	scratch_load_b128 v[164:167], off, off offset:496 ; 16-byte Folded Reload
	s_waitcnt vmcnt(0)
	v_fma_f64 v[124:125], v[166:167], v[176:177], v[76:77]
	v_fma_f64 v[126:127], v[166:167], v[178:179], -v[78:79]
	scratch_load_b128 v[166:169], off, off offset:464 ; 16-byte Folded Reload
	v_mul_f64 v[76:77], v[164:165], v[106:107]
	v_mul_f64 v[78:79], v[164:165], v[104:105]
	s_waitcnt vmcnt(0)
	s_delay_alu instid0(VALU_DEP_2)
	v_fma_f64 v[164:165], v[166:167], v[104:105], v[76:77]
	scratch_load_b64 v[104:105], off, off offset:448 ; 8-byte Folded Reload
	v_mul_f64 v[76:77], v[168:169], v[154:155]
	v_fma_f64 v[166:167], v[166:167], v[106:107], -v[78:79]
	v_mul_f64 v[78:79], v[168:169], v[152:153]
	s_waitcnt vmcnt(0)
	s_barrier
	buffer_gl0_inv
	v_fma_f64 v[152:153], v[104:105], v[152:153], v[76:77]
	v_add_f64 v[76:77], v[138:139], v[88:89]
	v_fma_f64 v[154:155], v[104:105], v[154:155], -v[78:79]
	s_delay_alu instid0(VALU_DEP_2) | instskip(SKIP_3) | instid1(VALU_DEP_3)
	v_fma_f64 v[104:105], v[76:77], -0.5, v[148:149]
	v_add_f64 v[76:77], v[120:121], v[90:91]
	v_add_f64 v[148:149], v[148:149], v[138:139]
	v_add_f64 v[138:139], v[138:139], -v[88:89]
	v_fma_f64 v[106:107], v[76:77], -0.5, v[150:151]
	v_add_f64 v[76:77], v[150:151], v[120:121]
	v_add_f64 v[120:121], v[120:121], -v[90:91]
	s_delay_alu instid0(VALU_DEP_2) | instskip(SKIP_1) | instid1(VALU_DEP_3)
	v_add_f64 v[78:79], v[76:77], v[90:91]
	v_add_f64 v[76:77], v[148:149], v[88:89]
	v_fma_f64 v[88:89], v[120:121], s[8:9], v[104:105]
	v_fma_f64 v[104:105], v[120:121], s[10:11], v[104:105]
	scratch_load_b32 v120, off, off offset:664 ; 4-byte Folded Reload
	v_fma_f64 v[90:91], v[138:139], s[10:11], v[106:107]
	v_fma_f64 v[106:107], v[138:139], s[8:9], v[106:107]
	s_waitcnt vmcnt(0)
	ds_store_b128 v120, v[76:79]
	ds_store_b128 v120, v[88:91] offset:64
	ds_store_b128 v120, v[104:107] offset:128
	v_add_f64 v[76:77], v[116:117], v[112:113]
	v_add_f64 v[88:89], v[144:145], v[116:117]
	v_add_f64 v[104:105], v[118:119], -v[114:115]
	s_delay_alu instid0(VALU_DEP_3) | instskip(SKIP_1) | instid1(VALU_DEP_1)
	v_fma_f64 v[90:91], v[76:77], -0.5, v[144:145]
	v_add_f64 v[76:77], v[118:119], v[114:115]
	v_fma_f64 v[106:107], v[76:77], -0.5, v[146:147]
	v_add_f64 v[76:77], v[146:147], v[118:119]
	v_add_f64 v[118:119], v[156:157], -v[142:143]
	s_delay_alu instid0(VALU_DEP_2)
	v_add_f64 v[78:79], v[76:77], v[114:115]
	v_add_f64 v[76:77], v[88:89], v[112:113]
	v_add_f64 v[112:113], v[116:117], -v[112:113]
	v_fma_f64 v[88:89], v[104:105], s[8:9], v[90:91]
	v_fma_f64 v[104:105], v[104:105], s[10:11], v[90:91]
	v_add_f64 v[114:115], v[140:141], -v[136:137]
	s_delay_alu instid0(VALU_DEP_4)
	v_fma_f64 v[90:91], v[112:113], s[10:11], v[106:107]
	v_fma_f64 v[106:107], v[112:113], s[8:9], v[106:107]
	scratch_load_b32 v112, off, off offset:660 ; 4-byte Folded Reload
	s_waitcnt vmcnt(0)
	ds_store_b128 v112, v[76:79]
	ds_store_b128 v112, v[88:91] offset:64
	ds_store_b128 v112, v[104:107] offset:128
	v_add_f64 v[76:77], v[152:153], v[124:125]
	v_add_f64 v[88:89], v[100:101], v[152:153]
	;; [unrolled: 1-line block ×3, first 2 shown]
	s_delay_alu instid0(VALU_DEP_3) | instskip(SKIP_2) | instid1(VALU_DEP_4)
	v_fma_f64 v[90:91], v[76:77], -0.5, v[100:101]
	v_add_f64 v[76:77], v[154:155], v[126:127]
	v_add_f64 v[100:101], v[154:155], -v[126:127]
	v_fma_f64 v[106:107], v[106:107], -0.5, v[98:99]
	v_add_f64 v[98:99], v[98:99], v[140:141]
	s_delay_alu instid0(VALU_DEP_4) | instskip(SKIP_2) | instid1(VALU_DEP_4)
	v_fma_f64 v[104:105], v[76:77], -0.5, v[102:103]
	v_add_f64 v[76:77], v[102:103], v[154:155]
	v_add_f64 v[102:103], v[152:153], -v[124:125]
	v_add_f64 v[98:99], v[98:99], v[136:137]
	v_add_f64 v[136:137], v[164:165], -v[160:161]
	s_delay_alu instid0(VALU_DEP_4)
	v_add_f64 v[78:79], v[76:77], v[126:127]
	v_add_f64 v[76:77], v[88:89], v[124:125]
	v_fma_f64 v[88:89], v[100:101], s[8:9], v[90:91]
	v_fma_f64 v[100:101], v[100:101], s[10:11], v[90:91]
	;; [unrolled: 1-line block ×4, first 2 shown]
	v_add_f64 v[104:105], v[156:157], v[142:143]
	v_add_f64 v[124:125], v[132:133], -v[110:111]
	s_delay_alu instid0(VALU_DEP_2) | instskip(SKIP_1) | instid1(VALU_DEP_2)
	v_fma_f64 v[104:105], v[104:105], -0.5, v[96:97]
	v_add_f64 v[96:97], v[96:97], v[156:157]
	v_fma_f64 v[112:113], v[114:115], s[8:9], v[104:105]
	v_fma_f64 v[116:117], v[114:115], s[10:11], v[104:105]
	v_add_f64 v[104:105], v[122:123], v[108:109]
	v_fma_f64 v[114:115], v[118:119], s[10:11], v[106:107]
	v_fma_f64 v[118:119], v[118:119], s[8:9], v[106:107]
	v_add_f64 v[106:107], v[132:133], v[110:111]
	v_add_f64 v[96:97], v[96:97], v[142:143]
	v_fma_f64 v[104:105], v[104:105], -0.5, v[92:93]
	v_add_f64 v[92:93], v[92:93], v[122:123]
	s_delay_alu instid0(VALU_DEP_4) | instskip(SKIP_1) | instid1(VALU_DEP_4)
	v_fma_f64 v[106:107], v[106:107], -0.5, v[94:95]
	v_add_f64 v[94:95], v[94:95], v[132:133]
	v_fma_f64 v[120:121], v[124:125], s[8:9], v[104:105]
	s_delay_alu instid0(VALU_DEP_4)
	v_add_f64 v[92:93], v[92:93], v[108:109]
	v_add_f64 v[108:109], v[122:123], -v[108:109]
	v_fma_f64 v[124:125], v[124:125], s[10:11], v[104:105]
	v_add_f64 v[104:105], v[134:135], v[128:129]
	v_add_f64 v[94:95], v[94:95], v[110:111]
	v_add_f64 v[110:111], v[134:135], -v[128:129]
	v_fma_f64 v[122:123], v[108:109], s[10:11], v[106:107]
	v_fma_f64 v[126:127], v[108:109], s[8:9], v[106:107]
	v_fma_f64 v[104:105], v[104:105], -0.5, v[84:85]
	v_add_f64 v[106:107], v[158:159], v[130:131]
	v_add_f64 v[84:85], v[84:85], v[134:135]
	v_add_f64 v[108:109], v[158:159], -v[130:131]
	s_delay_alu instid0(VALU_DEP_3) | instskip(SKIP_1) | instid1(VALU_DEP_4)
	v_fma_f64 v[106:107], v[106:107], -0.5, v[86:87]
	v_add_f64 v[86:87], v[86:87], v[158:159]
	v_add_f64 v[84:85], v[84:85], v[128:129]
	s_delay_alu instid0(VALU_DEP_4)
	v_fma_f64 v[128:129], v[108:109], s[8:9], v[104:105]
	v_fma_f64 v[132:133], v[108:109], s[10:11], v[104:105]
	v_add_f64 v[104:105], v[164:165], v[160:161]
	v_add_f64 v[108:109], v[166:167], -v[162:163]
	v_fma_f64 v[134:135], v[110:111], s[8:9], v[106:107]
	v_add_f64 v[86:87], v[86:87], v[130:131]
	v_fma_f64 v[130:131], v[110:111], s[10:11], v[106:107]
	v_fma_f64 v[106:107], v[104:105], -0.5, v[80:81]
	v_add_f64 v[104:105], v[166:167], v[162:163]
	v_add_f64 v[80:81], v[80:81], v[164:165]
	s_delay_alu instid0(VALU_DEP_2) | instskip(NEXT) | instid1(VALU_DEP_4)
	v_fma_f64 v[110:111], v[104:105], -0.5, v[82:83]
	v_fma_f64 v[104:105], v[108:109], s[8:9], v[106:107]
	v_fma_f64 v[108:109], v[108:109], s[10:11], v[106:107]
	v_add_f64 v[82:83], v[82:83], v[166:167]
	v_add_f64 v[80:81], v[80:81], v[160:161]
	v_fma_f64 v[106:107], v[136:137], s[10:11], v[110:111]
	v_fma_f64 v[110:111], v[136:137], s[8:9], v[110:111]
	scratch_load_b32 v136, off, off offset:656 ; 4-byte Folded Reload
	v_add_f64 v[82:83], v[82:83], v[162:163]
	s_waitcnt vmcnt(0)
	ds_store_b128 v136, v[76:79]
	ds_store_b128 v136, v[88:91] offset:64
	ds_store_b128 v136, v[100:103] offset:128
	scratch_load_b32 v76, off, off offset:648 ; 4-byte Folded Reload
	s_waitcnt vmcnt(0)
	ds_store_b128 v76, v[96:99]
	ds_store_b128 v76, v[112:115] offset:64
	ds_store_b128 v76, v[116:119] offset:128
	scratch_load_b32 v76, off, off offset:640 ; 4-byte Folded Reload
	;; [unrolled: 5-line block ×3, first 2 shown]
	s_waitcnt vmcnt(0)
	ds_store_b128 v76, v[84:87]
	ds_store_b128 v76, v[128:131] offset:64
	ds_store_b128 v76, v[132:135] offset:128
	s_and_saveexec_b32 s1, vcc_lo
	s_cbranch_execz .LBB0_17
; %bb.16:
	s_clause 0x1
	scratch_load_b32 v76, off, off offset:876
	scratch_load_b32 v77, off, off offset:872
	s_waitcnt vmcnt(1)
	v_mul_u32_u24_e32 v76, 12, v76
	s_waitcnt vmcnt(0)
	s_delay_alu instid0(VALU_DEP_1) | instskip(NEXT) | instid1(VALU_DEP_1)
	v_or_b32_e32 v76, v76, v77
	v_lshlrev_b32_e32 v76, 4, v76
	ds_store_b128 v76, v[80:83]
	ds_store_b128 v76, v[104:107] offset:64
	ds_store_b128 v76, v[108:111] offset:128
.LBB0_17:
	s_or_b32 exec_lo, exec_lo, s1
	s_waitcnt lgkmcnt(0)
	s_barrier
	buffer_gl0_inv
	ds_load_b128 v[100:103], v172
	ds_load_b128 v[96:99], v172 offset:1008
	ds_load_b128 v[176:179], v172 offset:6720
	;; [unrolled: 1-line block ×17, first 2 shown]
	s_and_saveexec_b32 s1, vcc_lo
	s_cbranch_execz .LBB0_19
; %bb.18:
	ds_load_b128 v[80:83], v172 offset:6048
	ds_load_b128 v[104:107], v172 offset:12768
	;; [unrolled: 1-line block ×3, first 2 shown]
.LBB0_19:
	s_or_b32 exec_lo, exec_lo, s1
	scratch_load_b128 v[160:163], off, off offset:668 ; 16-byte Folded Reload
	s_mov_b32 s10, 0xe8584caa
	s_mov_b32 s11, 0xbfebb67a
	;; [unrolled: 1-line block ×4, first 2 shown]
	s_waitcnt vmcnt(0) lgkmcnt(15)
	v_mul_f64 v[156:157], v[162:163], v[178:179]
	v_mul_f64 v[158:159], v[162:163], v[176:177]
	scratch_load_b128 v[162:165], off, off offset:684 ; 16-byte Folded Reload
	v_fma_f64 v[156:157], v[160:161], v[176:177], v[156:157]
	v_fma_f64 v[158:159], v[160:161], v[178:179], -v[158:159]
	s_waitcnt vmcnt(0) lgkmcnt(13)
	v_mul_f64 v[160:161], v[164:165], v[154:155]
	s_delay_alu instid0(VALU_DEP_1) | instskip(SKIP_1) | instid1(VALU_DEP_1)
	v_fma_f64 v[160:161], v[162:163], v[152:153], v[160:161]
	v_mul_f64 v[152:153], v[164:165], v[152:153]
	v_fma_f64 v[152:153], v[162:163], v[154:155], -v[152:153]
	scratch_load_b128 v[162:165], off, off offset:700 ; 16-byte Folded Reload
	s_waitcnt vmcnt(0)
	v_mul_f64 v[154:155], v[164:165], v[150:151]
	s_delay_alu instid0(VALU_DEP_1) | instskip(SKIP_1) | instid1(VALU_DEP_1)
	v_fma_f64 v[154:155], v[162:163], v[148:149], v[154:155]
	v_mul_f64 v[148:149], v[164:165], v[148:149]
	v_fma_f64 v[148:149], v[162:163], v[150:151], -v[148:149]
	scratch_load_b128 v[162:165], off, off offset:716 ; 16-byte Folded Reload
	s_waitcnt vmcnt(0) lgkmcnt(12)
	v_mul_f64 v[150:151], v[164:165], v[142:143]
	s_delay_alu instid0(VALU_DEP_1) | instskip(SKIP_1) | instid1(VALU_DEP_1)
	v_fma_f64 v[150:151], v[162:163], v[140:141], v[150:151]
	v_mul_f64 v[140:141], v[164:165], v[140:141]
	v_fma_f64 v[140:141], v[162:163], v[142:143], -v[140:141]
	scratch_load_b128 v[162:165], off, off offset:732 ; 16-byte Folded Reload
	s_waitcnt vmcnt(0) lgkmcnt(9)
	;; [unrolled: 7-line block ×3, first 2 shown]
	v_mul_f64 v[146:147], v[164:165], v[138:139]
	s_delay_alu instid0(VALU_DEP_1) | instskip(SKIP_1) | instid1(VALU_DEP_1)
	v_fma_f64 v[146:147], v[162:163], v[136:137], v[146:147]
	v_mul_f64 v[136:137], v[164:165], v[136:137]
	v_fma_f64 v[136:137], v[162:163], v[138:139], -v[136:137]
	scratch_load_b128 v[162:165], off, off offset:764 ; 16-byte Folded Reload
	s_waitcnt vmcnt(0)
	v_mul_f64 v[138:139], v[164:165], v[134:135]
	s_delay_alu instid0(VALU_DEP_1) | instskip(SKIP_1) | instid1(VALU_DEP_1)
	v_fma_f64 v[138:139], v[162:163], v[132:133], v[138:139]
	v_mul_f64 v[132:133], v[164:165], v[132:133]
	v_fma_f64 v[132:133], v[162:163], v[134:135], -v[132:133]
	scratch_load_b128 v[162:165], off, off offset:780 ; 16-byte Folded Reload
	s_waitcnt vmcnt(0) lgkmcnt(6)
	v_mul_f64 v[134:135], v[164:165], v[126:127]
	s_delay_alu instid0(VALU_DEP_1) | instskip(SKIP_1) | instid1(VALU_DEP_1)
	v_fma_f64 v[134:135], v[162:163], v[124:125], v[134:135]
	v_mul_f64 v[124:125], v[164:165], v[124:125]
	v_fma_f64 v[124:125], v[162:163], v[126:127], -v[124:125]
	scratch_load_b128 v[162:165], off, off offset:796 ; 16-byte Folded Reload
	s_waitcnt vmcnt(0) lgkmcnt(3)
	;; [unrolled: 7-line block ×3, first 2 shown]
	s_barrier
	buffer_gl0_inv
	v_mul_f64 v[130:131], v[164:165], v[122:123]
	s_delay_alu instid0(VALU_DEP_1) | instskip(SKIP_1) | instid1(VALU_DEP_1)
	v_fma_f64 v[130:131], v[162:163], v[120:121], v[130:131]
	v_mul_f64 v[120:121], v[164:165], v[120:121]
	v_fma_f64 v[120:121], v[162:163], v[122:123], -v[120:121]
	v_mul_f64 v[122:123], v[202:203], v[118:119]
	s_delay_alu instid0(VALU_DEP_1) | instskip(SKIP_1) | instid1(VALU_DEP_1)
	v_fma_f64 v[122:123], v[200:201], v[116:117], v[122:123]
	v_mul_f64 v[116:117], v[202:203], v[116:117]
	v_fma_f64 v[162:163], v[200:201], v[118:119], -v[116:117]
	v_mul_f64 v[116:117], v[206:207], v[114:115]
	s_delay_alu instid0(VALU_DEP_1) | instskip(SKIP_2) | instid1(VALU_DEP_2)
	v_fma_f64 v[164:165], v[204:205], v[112:113], v[116:117]
	v_mul_f64 v[112:113], v[206:207], v[112:113]
	v_add_f64 v[116:117], v[158:159], -v[152:153]
	v_fma_f64 v[166:167], v[204:205], v[114:115], -v[112:113]
	v_mul_f64 v[112:113], v[210:211], v[106:107]
	s_delay_alu instid0(VALU_DEP_1) | instskip(SKIP_1) | instid1(VALU_DEP_1)
	v_fma_f64 v[112:113], v[208:209], v[104:105], v[112:113]
	v_mul_f64 v[104:105], v[210:211], v[104:105]
	v_fma_f64 v[114:115], v[208:209], v[106:107], -v[104:105]
	v_mul_f64 v[104:105], v[214:215], v[110:111]
	v_mul_f64 v[106:107], v[214:215], v[108:109]
	s_delay_alu instid0(VALU_DEP_2) | instskip(SKIP_1) | instid1(VALU_DEP_3)
	v_fma_f64 v[104:105], v[212:213], v[108:109], v[104:105]
	v_add_f64 v[108:109], v[156:157], v[160:161]
	v_fma_f64 v[106:107], v[212:213], v[110:111], -v[106:107]
	s_delay_alu instid0(VALU_DEP_2) | instskip(SKIP_2) | instid1(VALU_DEP_2)
	v_fma_f64 v[110:111], v[108:109], -0.5, v[100:101]
	v_add_f64 v[108:109], v[158:159], v[152:153]
	v_add_f64 v[100:101], v[100:101], v[156:157]
	v_fma_f64 v[118:119], v[108:109], -0.5, v[102:103]
	v_add_f64 v[102:103], v[102:103], v[158:159]
	v_fma_f64 v[108:109], v[116:117], s[10:11], v[110:111]
	v_fma_f64 v[116:117], v[116:117], s[8:9], v[110:111]
	v_add_f64 v[100:101], v[100:101], v[160:161]
	s_delay_alu instid0(VALU_DEP_4) | instskip(SKIP_1) | instid1(VALU_DEP_1)
	v_add_f64 v[102:103], v[102:103], v[152:153]
	v_add_f64 v[152:153], v[156:157], -v[160:161]
	v_fma_f64 v[110:111], v[152:153], s[8:9], v[118:119]
	v_fma_f64 v[118:119], v[152:153], s[10:11], v[118:119]
	scratch_load_b32 v152, off, off offset:848 ; 4-byte Folded Reload
	s_waitcnt vmcnt(0)
	ds_store_b128 v152, v[100:103]
	ds_store_b128 v152, v[108:111] offset:192
	ds_store_b128 v152, v[116:119] offset:384
	v_add_f64 v[100:101], v[154:155], v[150:151]
	v_add_f64 v[108:109], v[148:149], -v[140:141]
	v_add_f64 v[116:117], v[154:155], -v[150:151]
	;; [unrolled: 1-line block ×3, first 2 shown]
	s_delay_alu instid0(VALU_DEP_4) | instskip(SKIP_2) | instid1(VALU_DEP_2)
	v_fma_f64 v[102:103], v[100:101], -0.5, v[96:97]
	v_add_f64 v[100:101], v[148:149], v[140:141]
	v_add_f64 v[96:97], v[96:97], v[154:155]
	v_fma_f64 v[110:111], v[100:101], -0.5, v[98:99]
	s_delay_alu instid0(VALU_DEP_4)
	v_fma_f64 v[100:101], v[108:109], s[10:11], v[102:103]
	v_fma_f64 v[108:109], v[108:109], s[8:9], v[102:103]
	v_add_f64 v[98:99], v[98:99], v[148:149]
	v_add_f64 v[96:97], v[96:97], v[150:151]
	v_fma_f64 v[102:103], v[116:117], s[8:9], v[110:111]
	v_fma_f64 v[110:111], v[116:117], s[10:11], v[110:111]
	scratch_load_b32 v116, off, off offset:852 ; 4-byte Folded Reload
	v_add_f64 v[98:99], v[98:99], v[140:141]
	s_waitcnt vmcnt(0)
	ds_store_b128 v116, v[96:99]
	ds_store_b128 v116, v[100:103] offset:192
	ds_store_b128 v116, v[108:111] offset:384
	v_add_f64 v[96:97], v[142:143], v[146:147]
	v_add_f64 v[108:109], v[144:145], -v[136:137]
	v_add_f64 v[110:111], v[142:143], -v[146:147]
	;; [unrolled: 1-line block ×3, first 2 shown]
	s_delay_alu instid0(VALU_DEP_4) | instskip(SKIP_2) | instid1(VALU_DEP_2)
	v_fma_f64 v[100:101], v[96:97], -0.5, v[92:93]
	v_add_f64 v[96:97], v[144:145], v[136:137]
	v_add_f64 v[92:93], v[92:93], v[142:143]
	v_fma_f64 v[102:103], v[96:97], -0.5, v[94:95]
	s_delay_alu instid0(VALU_DEP_4)
	v_fma_f64 v[96:97], v[108:109], s[10:11], v[100:101]
	v_fma_f64 v[100:101], v[108:109], s[8:9], v[100:101]
	scratch_load_b32 v108, off, off offset:844 ; 4-byte Folded Reload
	v_add_f64 v[94:95], v[94:95], v[144:145]
	v_add_f64 v[92:93], v[92:93], v[146:147]
	v_fma_f64 v[98:99], v[110:111], s[8:9], v[102:103]
	v_fma_f64 v[102:103], v[110:111], s[10:11], v[102:103]
	s_delay_alu instid0(VALU_DEP_4)
	v_add_f64 v[94:95], v[94:95], v[136:137]
	s_waitcnt vmcnt(0)
	ds_store_b128 v108, v[92:95]
	ds_store_b128 v108, v[96:99] offset:192
	v_add_f64 v[92:93], v[138:139], v[134:135]
	ds_store_b128 v108, v[100:103] offset:384
	v_add_f64 v[94:95], v[132:133], v[124:125]
	v_add_f64 v[96:97], v[126:127], v[130:131]
	;; [unrolled: 1-line block ×4, first 2 shown]
	v_add_f64 v[108:109], v[132:133], -v[124:125]
	v_add_f64 v[138:139], v[114:115], v[106:107]
	v_fma_f64 v[102:103], v[92:93], -0.5, v[84:85]
	v_add_f64 v[92:93], v[122:123], v[164:165]
	v_add_f64 v[84:85], v[86:87], v[132:133]
	v_fma_f64 v[110:111], v[94:95], -0.5, v[86:87]
	v_add_f64 v[86:87], v[88:89], v[126:127]
	v_fma_f64 v[88:89], v[96:97], -0.5, v[88:89]
	v_fma_f64 v[136:137], v[98:99], -0.5, v[90:91]
	v_add_f64 v[90:91], v[90:91], v[128:129]
	v_add_f64 v[98:99], v[78:79], v[162:163]
	v_add_f64 v[132:133], v[122:123], -v[164:165]
	v_add_f64 v[96:97], v[76:77], v[122:123]
	v_fma_f64 v[140:141], v[92:93], -0.5, v[76:77]
	v_add_f64 v[92:93], v[162:163], v[166:167]
	v_add_f64 v[76:77], v[100:101], v[134:135]
	v_fma_f64 v[100:101], v[108:109], s[10:11], v[102:103]
	v_fma_f64 v[108:109], v[108:109], s[8:9], v[102:103]
	;; [unrolled: 1-line block ×3, first 2 shown]
	v_add_f64 v[94:95], v[90:91], v[120:121]
	v_fma_f64 v[110:111], v[116:117], s[10:11], v[110:111]
	v_fma_f64 v[116:117], v[118:119], s[10:11], v[88:89]
	;; [unrolled: 1-line block ×3, first 2 shown]
	v_add_f64 v[134:135], v[112:113], v[104:105]
	v_add_f64 v[90:91], v[112:113], -v[104:105]
	v_fma_f64 v[88:89], v[138:139], -0.5, v[82:83]
	v_add_f64 v[96:97], v[96:97], v[164:165]
	v_add_f64 v[98:99], v[98:99], v[166:167]
	v_fma_f64 v[142:143], v[92:93], -0.5, v[78:79]
	v_add_f64 v[78:79], v[84:85], v[124:125]
	v_add_f64 v[124:125], v[126:127], -v[130:131]
	v_add_f64 v[126:127], v[162:163], -v[166:167]
	v_add_f64 v[92:93], v[86:87], v[130:131]
	v_add_f64 v[84:85], v[114:115], -v[106:107]
	v_fma_f64 v[86:87], v[134:135], -0.5, v[80:81]
	v_fma_f64 v[130:131], v[132:133], s[10:11], v[142:143]
	v_fma_f64 v[118:119], v[124:125], s[8:9], v[136:137]
	;; [unrolled: 1-line block ×6, first 2 shown]
	scratch_load_b32 v132, off, off offset:840 ; 4-byte Folded Reload
	s_waitcnt vmcnt(0)
	ds_store_b128 v132, v[76:79]
	ds_store_b128 v132, v[100:103] offset:192
	ds_store_b128 v132, v[108:111] offset:384
	scratch_load_b32 v100, off, off offset:836 ; 4-byte Folded Reload
	v_fma_f64 v[76:77], v[84:85], s[8:9], v[86:87]
	v_fma_f64 v[78:79], v[90:91], s[10:11], v[88:89]
	s_waitcnt vmcnt(0)
	ds_store_b128 v100, v[92:95]
	ds_store_b128 v100, v[116:119] offset:192
	ds_store_b128 v100, v[120:123] offset:384
	scratch_load_b32 v92, off, off offset:832 ; 4-byte Folded Reload
	s_waitcnt vmcnt(0)
	ds_store_b128 v92, v[96:99]
	ds_store_b128 v92, v[124:127] offset:192
	ds_store_b128 v92, v[128:131] offset:384
	s_and_saveexec_b32 s1, vcc_lo
	s_cbranch_execz .LBB0_21
; %bb.20:
	v_mul_f64 v[90:91], v[90:91], s[8:9]
	v_add_f64 v[80:81], v[80:81], v[112:113]
	v_mul_f64 v[84:85], v[84:85], s[8:9]
	v_add_f64 v[92:93], v[82:83], v[114:115]
	s_delay_alu instid0(VALU_DEP_4) | instskip(NEXT) | instid1(VALU_DEP_4)
	v_add_f64 v[82:83], v[90:91], v[88:89]
	v_add_f64 v[88:89], v[80:81], v[104:105]
	s_delay_alu instid0(VALU_DEP_4) | instskip(SKIP_4) | instid1(VALU_DEP_1)
	v_add_f64 v[80:81], v[86:87], -v[84:85]
	scratch_load_b32 v84, off, off offset:828 ; 4-byte Folded Reload
	v_add_f64 v[90:91], v[92:93], v[106:107]
	s_waitcnt vmcnt(0)
	v_and_b32_e32 v84, 0xffff, v84
	v_lshlrev_b32_e32 v84, 4, v84
	ds_store_b128 v84, v[88:91]
	ds_store_b128 v84, v[80:83] offset:192
	ds_store_b128 v84, v[76:79] offset:384
.LBB0_21:
	s_or_b32 exec_lo, exec_lo, s1
	s_waitcnt lgkmcnt(0)
	s_barrier
	buffer_gl0_inv
	ds_load_b128 v[80:83], v172 offset:4032
	s_mov_b32 s12, 0x134454ff
	s_mov_b32 s13, 0xbfee6f0e
	;; [unrolled: 1-line block ×10, first 2 shown]
	s_waitcnt lgkmcnt(0)
	v_mul_f64 v[84:85], v[222:223], v[82:83]
	s_delay_alu instid0(VALU_DEP_1) | instskip(SKIP_1) | instid1(VALU_DEP_1)
	v_fma_f64 v[110:111], v[220:221], v[80:81], v[84:85]
	v_mul_f64 v[80:81], v[222:223], v[80:81]
	v_fma_f64 v[108:109], v[220:221], v[82:83], -v[80:81]
	ds_load_b128 v[80:83], v172 offset:8064
	s_waitcnt lgkmcnt(0)
	v_mul_f64 v[84:85], v[242:243], v[82:83]
	s_delay_alu instid0(VALU_DEP_1) | instskip(SKIP_1) | instid1(VALU_DEP_1)
	v_fma_f64 v[112:113], v[240:241], v[80:81], v[84:85]
	v_mul_f64 v[80:81], v[242:243], v[80:81]
	v_fma_f64 v[116:117], v[240:241], v[82:83], -v[80:81]
	ds_load_b128 v[80:83], v172 offset:12096
	s_waitcnt lgkmcnt(0)
	v_mul_f64 v[84:85], v[238:239], v[82:83]
	s_delay_alu instid0(VALU_DEP_1) | instskip(SKIP_1) | instid1(VALU_DEP_2)
	v_fma_f64 v[118:119], v[236:237], v[80:81], v[84:85]
	v_mul_f64 v[80:81], v[238:239], v[80:81]
	v_add_f64 v[132:133], v[112:113], -v[118:119]
	s_delay_alu instid0(VALU_DEP_2) | instskip(SKIP_4) | instid1(VALU_DEP_2)
	v_fma_f64 v[114:115], v[236:237], v[82:83], -v[80:81]
	ds_load_b128 v[80:83], v172 offset:16128
	s_waitcnt lgkmcnt(0)
	v_mul_f64 v[84:85], v[234:235], v[80:81]
	v_add_f64 v[128:129], v[116:117], -v[114:115]
	v_fma_f64 v[120:121], v[232:233], v[82:83], -v[84:85]
	v_mul_f64 v[82:83], v[234:235], v[82:83]
	s_delay_alu instid0(VALU_DEP_2) | instskip(NEXT) | instid1(VALU_DEP_2)
	v_add_f64 v[130:131], v[108:109], -v[120:121]
	v_fma_f64 v[122:123], v[232:233], v[80:81], v[82:83]
	ds_load_b128 v[80:83], v172 offset:5040
	s_waitcnt lgkmcnt(0)
	v_mul_f64 v[84:85], v[230:231], v[82:83]
	v_add_f64 v[134:135], v[110:111], -v[122:123]
	s_delay_alu instid0(VALU_DEP_2) | instskip(SKIP_1) | instid1(VALU_DEP_1)
	v_fma_f64 v[94:95], v[228:229], v[80:81], v[84:85]
	v_mul_f64 v[80:81], v[230:231], v[80:81]
	v_fma_f64 v[92:93], v[228:229], v[82:83], -v[80:81]
	ds_load_b128 v[80:83], v172 offset:9072
	s_waitcnt lgkmcnt(0)
	v_mul_f64 v[84:85], v[226:227], v[82:83]
	s_delay_alu instid0(VALU_DEP_1) | instskip(SKIP_1) | instid1(VALU_DEP_1)
	v_fma_f64 v[98:99], v[224:225], v[80:81], v[84:85]
	v_mul_f64 v[80:81], v[226:227], v[80:81]
	v_fma_f64 v[100:101], v[224:225], v[82:83], -v[80:81]
	ds_load_b128 v[80:83], v172 offset:13104
	s_waitcnt lgkmcnt(0)
	v_mul_f64 v[84:85], v[246:247], v[82:83]
	s_delay_alu instid0(VALU_DEP_1) | instskip(SKIP_1) | instid1(VALU_DEP_1)
	;; [unrolled: 7-line block ×3, first 2 shown]
	v_fma_f64 v[104:105], v[248:249], v[82:83], -v[84:85]
	v_mul_f64 v[82:83], v[250:251], v[82:83]
	v_fma_f64 v[106:107], v[248:249], v[80:81], v[82:83]
	ds_load_b128 v[80:83], v172 offset:6048
	s_waitcnt lgkmcnt(0)
	v_mul_f64 v[84:85], v[2:3], v[82:83]
	v_mul_f64 v[2:3], v[2:3], v[80:81]
	s_delay_alu instid0(VALU_DEP_2) | instskip(NEXT) | instid1(VALU_DEP_2)
	v_fma_f64 v[84:85], v[0:1], v[80:81], v[84:85]
	v_fma_f64 v[82:83], v[0:1], v[82:83], -v[2:3]
	ds_load_b128 v[0:3], v172 offset:10080
	s_waitcnt lgkmcnt(0)
	v_mul_f64 v[80:81], v[6:7], v[2:3]
	s_delay_alu instid0(VALU_DEP_1) | instskip(SKIP_1) | instid1(VALU_DEP_1)
	v_fma_f64 v[86:87], v[4:5], v[0:1], v[80:81]
	v_mul_f64 v[0:1], v[6:7], v[0:1]
	v_fma_f64 v[6:7], v[4:5], v[2:3], -v[0:1]
	ds_load_b128 v[0:3], v172 offset:14112
	s_waitcnt lgkmcnt(0)
	v_mul_f64 v[4:5], v[10:11], v[2:3]
	s_delay_alu instid0(VALU_DEP_1) | instskip(SKIP_1) | instid1(VALU_DEP_1)
	v_fma_f64 v[88:89], v[8:9], v[0:1], v[4:5]
	v_mul_f64 v[0:1], v[10:11], v[0:1]
	;; [unrolled: 7-line block ×6, first 2 shown]
	v_fma_f64 v[20:21], v[32:33], v[2:3], -v[0:1]
	ds_load_b128 v[0:3], v172 offset:19152
	s_waitcnt lgkmcnt(0)
	v_mul_f64 v[18:19], v[30:31], v[2:3]
	s_delay_alu instid0(VALU_DEP_1) | instskip(SKIP_2) | instid1(VALU_DEP_2)
	v_fma_f64 v[26:27], v[28:29], v[0:1], v[18:19]
	v_mul_f64 v[0:1], v[30:31], v[0:1]
	v_add_f64 v[30:31], v[110:111], v[122:123]
	v_fma_f64 v[28:29], v[28:29], v[2:3], -v[0:1]
	v_add_f64 v[0:1], v[112:113], -v[110:111]
	v_add_f64 v[2:3], v[118:119], -v[122:123]
	s_delay_alu instid0(VALU_DEP_1) | instskip(SKIP_2) | instid1(VALU_DEP_1)
	v_add_f64 v[18:19], v[0:1], v[2:3]
	v_add_f64 v[0:1], v[116:117], -v[108:109]
	v_add_f64 v[2:3], v[114:115], -v[120:121]
	v_add_f64 v[34:35], v[0:1], v[2:3]
	ds_load_b128 v[0:3], v172
	s_waitcnt lgkmcnt(0)
	v_fma_f64 v[124:125], v[30:31], -0.5, v[0:1]
	v_add_f64 v[30:31], v[108:109], v[120:121]
	s_delay_alu instid0(VALU_DEP_1) | instskip(NEXT) | instid1(VALU_DEP_3)
	v_fma_f64 v[126:127], v[30:31], -0.5, v[2:3]
	v_fma_f64 v[30:31], v[128:129], s[14:15], v[124:125]
	v_fma_f64 v[124:125], v[128:129], s[12:13], v[124:125]
	s_delay_alu instid0(VALU_DEP_3) | instskip(SKIP_1) | instid1(VALU_DEP_4)
	v_fma_f64 v[32:33], v[132:133], s[12:13], v[126:127]
	v_fma_f64 v[126:127], v[132:133], s[14:15], v[126:127]
	;; [unrolled: 1-line block ×3, first 2 shown]
	s_delay_alu instid0(VALU_DEP_4) | instskip(NEXT) | instid1(VALU_DEP_4)
	v_fma_f64 v[124:125], v[130:131], s[10:11], v[124:125]
	v_fma_f64 v[32:33], v[134:135], s[10:11], v[32:33]
	s_delay_alu instid0(VALU_DEP_4) | instskip(NEXT) | instid1(VALU_DEP_4)
	v_fma_f64 v[126:127], v[134:135], s[8:9], v[126:127]
	v_fma_f64 v[30:31], v[18:19], s[16:17], v[30:31]
	s_delay_alu instid0(VALU_DEP_4) | instskip(SKIP_4) | instid1(VALU_DEP_4)
	v_fma_f64 v[124:125], v[18:19], s[16:17], v[124:125]
	v_add_f64 v[18:19], v[112:113], v[118:119]
	v_fma_f64 v[32:33], v[34:35], s[16:17], v[32:33]
	v_fma_f64 v[126:127], v[34:35], s[16:17], v[126:127]
	v_add_f64 v[34:35], v[116:117], v[114:115]
	v_fma_f64 v[18:19], v[18:19], -0.5, v[0:1]
	v_add_f64 v[0:1], v[0:1], v[110:111]
	v_add_f64 v[110:111], v[110:111], -v[112:113]
	s_delay_alu instid0(VALU_DEP_4) | instskip(SKIP_4) | instid1(VALU_DEP_4)
	v_fma_f64 v[34:35], v[34:35], -0.5, v[2:3]
	v_add_f64 v[2:3], v[2:3], v[108:109]
	v_add_f64 v[108:109], v[108:109], -v[116:117]
	v_add_f64 v[0:1], v[0:1], v[112:113]
	v_add_f64 v[112:113], v[122:123], -v[118:119]
	v_add_f64 v[2:3], v[2:3], v[116:117]
	v_fma_f64 v[116:117], v[130:131], s[12:13], v[18:19]
	v_fma_f64 v[18:19], v[130:131], s[14:15], v[18:19]
	v_add_f64 v[0:1], v[0:1], v[118:119]
	v_fma_f64 v[118:119], v[134:135], s[14:15], v[34:35]
	v_add_f64 v[112:113], v[110:111], v[112:113]
	;; [unrolled: 2-line block ×3, first 2 shown]
	v_add_f64 v[114:115], v[120:121], -v[114:115]
	v_fma_f64 v[18:19], v[128:129], s[10:11], v[18:19]
	v_add_f64 v[0:1], v[0:1], v[122:123]
	v_fma_f64 v[110:111], v[132:133], s[10:11], v[118:119]
	v_fma_f64 v[34:35], v[132:133], s[8:9], v[34:35]
	v_add_f64 v[2:3], v[2:3], v[120:121]
	v_add_f64 v[114:115], v[108:109], v[114:115]
	v_fma_f64 v[108:109], v[128:129], s[8:9], v[116:117]
	ds_load_b128 v[116:119], v172 offset:1008
	ds_load_b128 v[120:123], v172 offset:2016
	;; [unrolled: 1-line block ×3, first 2 shown]
	s_waitcnt lgkmcnt(0)
	s_barrier
	buffer_gl0_inv
	v_fma_f64 v[110:111], v[114:115], s[16:17], v[110:111]
	v_fma_f64 v[108:109], v[112:113], s[16:17], v[108:109]
	;; [unrolled: 1-line block ×3, first 2 shown]
	scratch_load_b32 v18, off, off offset:868 ; 4-byte Folded Reload
	v_fma_f64 v[114:115], v[114:115], s[16:17], v[34:35]
	s_waitcnt vmcnt(0)
	ds_store_b128 v18, v[0:3]
	ds_store_b128 v18, v[108:111] offset:576
	ds_store_b128 v18, v[30:33] offset:1152
	ds_store_b128 v18, v[124:127] offset:1728
	ds_store_b128 v18, v[112:115] offset:2304
	v_add_f64 v[0:1], v[94:95], -v[98:99]
	v_add_f64 v[2:3], v[106:107], -v[102:103]
	;; [unrolled: 1-line block ×3, first 2 shown]
	v_add_f64 v[30:31], v[100:101], v[96:97]
	v_add_f64 v[112:113], v[92:93], -v[104:105]
	v_add_f64 v[124:125], v[94:95], -v[106:107]
	;; [unrolled: 1-line block ×4, first 2 shown]
	v_add_f64 v[0:1], v[0:1], v[2:3]
	v_add_f64 v[2:3], v[92:93], -v[100:101]
	v_fma_f64 v[34:35], v[30:31], -0.5, v[118:119]
	s_delay_alu instid0(VALU_DEP_2) | instskip(SKIP_1) | instid1(VALU_DEP_3)
	v_add_f64 v[2:3], v[2:3], v[18:19]
	v_add_f64 v[18:19], v[98:99], v[102:103]
	v_fma_f64 v[32:33], v[124:125], s[14:15], v[34:35]
	v_fma_f64 v[34:35], v[124:125], s[12:13], v[34:35]
	s_delay_alu instid0(VALU_DEP_3) | instskip(NEXT) | instid1(VALU_DEP_3)
	v_fma_f64 v[18:19], v[18:19], -0.5, v[116:117]
	v_fma_f64 v[32:33], v[126:127], s[10:11], v[32:33]
	s_delay_alu instid0(VALU_DEP_3) | instskip(NEXT) | instid1(VALU_DEP_3)
	v_fma_f64 v[34:35], v[126:127], s[8:9], v[34:35]
	v_fma_f64 v[30:31], v[112:113], s[12:13], v[18:19]
	;; [unrolled: 1-line block ×3, first 2 shown]
	s_delay_alu instid0(VALU_DEP_3)
	v_fma_f64 v[110:111], v[2:3], s[16:17], v[34:35]
	v_add_f64 v[34:35], v[118:119], v[92:93]
	v_fma_f64 v[32:33], v[2:3], s[16:17], v[32:33]
	v_add_f64 v[2:3], v[92:93], v[104:105]
	v_fma_f64 v[30:31], v[114:115], s[8:9], v[30:31]
	v_fma_f64 v[18:19], v[114:115], s[10:11], v[18:19]
	v_add_f64 v[34:35], v[34:35], v[100:101]
	s_delay_alu instid0(VALU_DEP_4)
	v_fma_f64 v[2:3], v[2:3], -0.5, v[118:119]
	v_add_f64 v[118:119], v[86:87], -v[88:89]
	v_fma_f64 v[30:31], v[0:1], s[16:17], v[30:31]
	v_fma_f64 v[108:109], v[0:1], s[16:17], v[18:19]
	v_add_f64 v[18:19], v[116:117], v[94:95]
	v_add_f64 v[0:1], v[94:95], v[106:107]
	;; [unrolled: 1-line block ×3, first 2 shown]
	s_delay_alu instid0(VALU_DEP_3) | instskip(NEXT) | instid1(VALU_DEP_3)
	v_add_f64 v[18:19], v[18:19], v[98:99]
	v_fma_f64 v[0:1], v[0:1], -0.5, v[116:117]
	v_add_f64 v[116:117], v[98:99], -v[94:95]
	v_add_f64 v[98:99], v[100:101], -v[92:93]
	;; [unrolled: 1-line block ×3, first 2 shown]
	v_add_f64 v[94:95], v[34:35], v[104:105]
	v_add_f64 v[18:19], v[18:19], v[102:103]
	v_fma_f64 v[34:35], v[114:115], s[14:15], v[0:1]
	v_fma_f64 v[0:1], v[114:115], s[12:13], v[0:1]
	v_add_f64 v[114:115], v[6:7], -v[4:5]
	v_add_f64 v[100:101], v[116:117], v[100:101]
	v_add_f64 v[116:117], v[84:85], -v[90:91]
	v_add_f64 v[92:93], v[18:19], v[106:107]
	v_add_f64 v[18:19], v[96:97], -v[104:105]
	v_fma_f64 v[96:97], v[126:127], s[12:13], v[2:3]
	v_fma_f64 v[2:3], v[126:127], s[14:15], v[2:3]
	v_fma_f64 v[34:35], v[112:113], s[8:9], v[34:35]
	v_fma_f64 v[0:1], v[112:113], s[10:11], v[0:1]
	v_add_f64 v[112:113], v[82:83], -v[16:17]
	v_add_f64 v[126:127], v[130:131], v[8:9]
	v_add_f64 v[18:19], v[98:99], v[18:19]
	v_fma_f64 v[98:99], v[124:125], s[10:11], v[96:97]
	v_fma_f64 v[2:3], v[124:125], s[8:9], v[2:3]
	;; [unrolled: 1-line block ×4, first 2 shown]
	v_add_f64 v[0:1], v[84:85], -v[86:87]
	v_add_f64 v[34:35], v[6:7], v[4:5]
	v_add_f64 v[124:125], v[86:87], -v[84:85]
	v_fma_f64 v[98:99], v[18:19], s[16:17], v[98:99]
	v_fma_f64 v[102:103], v[18:19], s[16:17], v[2:3]
	v_add_f64 v[2:3], v[90:91], -v[88:89]
	v_add_f64 v[18:19], v[16:17], -v[4:5]
	v_fma_f64 v[34:35], v[34:35], -0.5, v[122:123]
	s_delay_alu instid0(VALU_DEP_3) | instskip(SKIP_1) | instid1(VALU_DEP_3)
	v_add_f64 v[0:1], v[0:1], v[2:3]
	v_add_f64 v[2:3], v[82:83], -v[6:7]
	v_fma_f64 v[106:107], v[116:117], s[14:15], v[34:35]
	v_fma_f64 v[34:35], v[116:117], s[12:13], v[34:35]
	s_delay_alu instid0(VALU_DEP_3) | instskip(SKIP_1) | instid1(VALU_DEP_4)
	v_add_f64 v[2:3], v[2:3], v[18:19]
	v_add_f64 v[18:19], v[86:87], v[88:89]
	v_fma_f64 v[106:107], v[118:119], s[10:11], v[106:107]
	s_delay_alu instid0(VALU_DEP_4) | instskip(NEXT) | instid1(VALU_DEP_3)
	v_fma_f64 v[34:35], v[118:119], s[8:9], v[34:35]
	v_fma_f64 v[18:19], v[18:19], -0.5, v[120:121]
	s_delay_alu instid0(VALU_DEP_3) | instskip(NEXT) | instid1(VALU_DEP_3)
	v_fma_f64 v[106:107], v[2:3], s[16:17], v[106:107]
	v_fma_f64 v[2:3], v[2:3], s[16:17], v[34:35]
	v_add_f64 v[34:35], v[82:83], v[16:17]
	s_delay_alu instid0(VALU_DEP_4) | instskip(SKIP_1) | instid1(VALU_DEP_3)
	v_fma_f64 v[104:105], v[112:113], s[12:13], v[18:19]
	v_fma_f64 v[18:19], v[112:113], s[14:15], v[18:19]
	v_fma_f64 v[34:35], v[34:35], -0.5, v[122:123]
	v_add_f64 v[122:123], v[122:123], v[82:83]
	s_delay_alu instid0(VALU_DEP_4) | instskip(NEXT) | instid1(VALU_DEP_4)
	v_fma_f64 v[104:105], v[114:115], s[8:9], v[104:105]
	v_fma_f64 v[18:19], v[114:115], s[10:11], v[18:19]
	s_delay_alu instid0(VALU_DEP_2) | instskip(NEXT) | instid1(VALU_DEP_2)
	v_fma_f64 v[104:105], v[0:1], s[16:17], v[104:105]
	v_fma_f64 v[0:1], v[0:1], s[16:17], v[18:19]
	v_add_f64 v[18:19], v[84:85], v[90:91]
	s_delay_alu instid0(VALU_DEP_1) | instskip(SKIP_1) | instid1(VALU_DEP_1)
	v_fma_f64 v[18:19], v[18:19], -0.5, v[120:121]
	v_add_f64 v[120:121], v[120:121], v[84:85]
	v_add_f64 v[84:85], v[120:121], v[86:87]
	;; [unrolled: 1-line block ×3, first 2 shown]
	v_add_f64 v[6:7], v[6:7], -v[82:83]
	v_add_f64 v[120:121], v[80:81], -v[22:23]
	;; [unrolled: 1-line block ×3, first 2 shown]
	v_add_f64 v[82:83], v[84:85], v[88:89]
	v_add_f64 v[84:85], v[86:87], v[4:5]
	v_add_f64 v[86:87], v[88:89], -v[90:91]
	v_add_f64 v[4:5], v[4:5], -v[16:17]
	v_fma_f64 v[88:89], v[118:119], s[12:13], v[34:35]
	v_fma_f64 v[34:35], v[118:119], s[14:15], v[34:35]
	v_add_f64 v[118:119], v[8:9], -v[28:29]
	v_add_f64 v[82:83], v[82:83], v[90:91]
	v_add_f64 v[84:85], v[84:85], v[16:17]
	v_fma_f64 v[16:17], v[114:115], s[14:15], v[18:19]
	v_fma_f64 v[18:19], v[114:115], s[12:13], v[18:19]
	v_add_f64 v[90:91], v[124:125], v[86:87]
	v_add_f64 v[4:5], v[6:7], v[4:5]
	v_fma_f64 v[34:35], v[116:117], s[8:9], v[34:35]
	v_add_f64 v[124:125], v[128:129], v[10:11]
	v_fma_f64 v[6:7], v[112:113], s[8:9], v[16:17]
	v_fma_f64 v[16:17], v[112:113], s[10:11], v[18:19]
	;; [unrolled: 1-line block ×3, first 2 shown]
	v_add_f64 v[116:117], v[24:25], -v[20:21]
	v_fma_f64 v[114:115], v[4:5], s[16:17], v[34:35]
	v_fma_f64 v[86:87], v[90:91], s[16:17], v[6:7]
	v_add_f64 v[6:7], v[22:23], -v[26:27]
	v_fma_f64 v[88:89], v[4:5], s[16:17], v[18:19]
	v_add_f64 v[4:5], v[80:81], -v[10:11]
	v_fma_f64 v[112:113], v[90:91], s[16:17], v[16:17]
	s_delay_alu instid0(VALU_DEP_2) | instskip(SKIP_2) | instid1(VALU_DEP_1)
	v_add_f64 v[16:17], v[4:5], v[6:7]
	v_add_f64 v[4:5], v[24:25], -v[8:9]
	v_add_f64 v[6:7], v[20:21], -v[28:29]
	v_add_f64 v[18:19], v[4:5], v[6:7]
	v_add_f64 v[4:5], v[10:11], v[26:27]
	s_delay_alu instid0(VALU_DEP_1) | instskip(SKIP_1) | instid1(VALU_DEP_1)
	v_fma_f64 v[34:35], v[4:5], -0.5, v[128:129]
	v_add_f64 v[4:5], v[8:9], v[28:29]
	v_fma_f64 v[90:91], v[4:5], -0.5, v[130:131]
	s_delay_alu instid0(VALU_DEP_3) | instskip(SKIP_1) | instid1(VALU_DEP_3)
	v_fma_f64 v[4:5], v[116:117], s[14:15], v[34:35]
	v_fma_f64 v[34:35], v[116:117], s[12:13], v[34:35]
	;; [unrolled: 1-line block ×3, first 2 shown]
	s_delay_alu instid0(VALU_DEP_3) | instskip(SKIP_1) | instid1(VALU_DEP_4)
	v_fma_f64 v[4:5], v[118:119], s[8:9], v[4:5]
	v_fma_f64 v[90:91], v[120:121], s[14:15], v[90:91]
	v_fma_f64 v[34:35], v[118:119], s[10:11], v[34:35]
	s_delay_alu instid0(VALU_DEP_4) | instskip(NEXT) | instid1(VALU_DEP_4)
	v_fma_f64 v[6:7], v[122:123], s[10:11], v[6:7]
	v_fma_f64 v[4:5], v[16:17], s[16:17], v[4:5]
	s_delay_alu instid0(VALU_DEP_4) | instskip(NEXT) | instid1(VALU_DEP_4)
	v_fma_f64 v[90:91], v[122:123], s[8:9], v[90:91]
	v_fma_f64 v[16:17], v[16:17], s[16:17], v[34:35]
	v_add_f64 v[34:35], v[80:81], v[22:23]
	v_fma_f64 v[6:7], v[18:19], s[16:17], v[6:7]
	s_delay_alu instid0(VALU_DEP_4) | instskip(SKIP_1) | instid1(VALU_DEP_4)
	v_fma_f64 v[18:19], v[18:19], s[16:17], v[90:91]
	v_add_f64 v[90:91], v[24:25], v[20:21]
	v_fma_f64 v[34:35], v[34:35], -0.5, v[128:129]
	v_add_f64 v[128:129], v[10:11], -v[80:81]
	v_add_f64 v[10:11], v[124:125], v[80:81]
	v_add_f64 v[80:81], v[126:127], v[24:25]
	v_add_f64 v[24:25], v[8:9], -v[24:25]
	v_fma_f64 v[90:91], v[90:91], -0.5, v[130:131]
	v_fma_f64 v[124:125], v[118:119], s[12:13], v[34:35]
	v_fma_f64 v[34:35], v[118:119], s[14:15], v[34:35]
	v_add_f64 v[8:9], v[10:11], v[22:23]
	v_add_f64 v[10:11], v[80:81], v[20:21]
	v_add_f64 v[22:23], v[26:27], -v[22:23]
	v_add_f64 v[20:21], v[28:29], -v[20:21]
	v_fma_f64 v[34:35], v[116:117], s[10:11], v[34:35]
	v_add_f64 v[8:9], v[8:9], v[26:27]
	v_add_f64 v[10:11], v[10:11], v[28:29]
	v_fma_f64 v[26:27], v[122:123], s[14:15], v[90:91]
	v_fma_f64 v[28:29], v[122:123], s[12:13], v[90:91]
	v_add_f64 v[90:91], v[24:25], v[20:21]
	v_add_f64 v[80:81], v[128:129], v[22:23]
	v_fma_f64 v[22:23], v[116:117], s[8:9], v[124:125]
	v_fma_f64 v[24:25], v[120:121], s[10:11], v[26:27]
	;; [unrolled: 1-line block ×3, first 2 shown]
	scratch_load_b32 v28, off, off offset:864 ; 4-byte Folded Reload
	s_waitcnt vmcnt(0)
	ds_store_b128 v28, v[92:95]
	ds_store_b128 v28, v[30:33] offset:576
	ds_store_b128 v28, v[96:99] offset:1152
	;; [unrolled: 1-line block ×4, first 2 shown]
	scratch_load_b32 v28, off, off offset:860 ; 4-byte Folded Reload
	v_fma_f64 v[20:21], v[80:81], s[16:17], v[22:23]
	v_fma_f64 v[22:23], v[90:91], s[16:17], v[24:25]
	;; [unrolled: 1-line block ×4, first 2 shown]
	s_waitcnt vmcnt(0)
	ds_store_b128 v28, v[82:85]
	ds_store_b128 v28, v[104:107] offset:576
	ds_store_b128 v28, v[86:89] offset:1152
	;; [unrolled: 1-line block ×4, first 2 shown]
	scratch_load_b32 v28, off, off offset:856 ; 4-byte Folded Reload
	s_waitcnt vmcnt(0)
	ds_store_b128 v28, v[8:11]
	ds_store_b128 v28, v[20:23] offset:576
	ds_store_b128 v28, v[4:7] offset:1152
	;; [unrolled: 1-line block ×4, first 2 shown]
	s_waitcnt lgkmcnt(0)
	s_barrier
	buffer_gl0_inv
	ds_load_b128 v[32:35], v172
	ds_load_b128 v[28:31], v172 offset:1008
	ds_load_b128 v[120:123], v172 offset:2880
	;; [unrolled: 1-line block ×13, first 2 shown]
	s_and_saveexec_b32 s1, s0
	s_cbranch_execz .LBB0_23
; %bb.22:
	ds_load_b128 v[0:3], v172 offset:2016
	ds_load_b128 v[8:11], v172 offset:4896
	;; [unrolled: 1-line block ×7, first 2 shown]
.LBB0_23:
	s_or_b32 exec_lo, exec_lo, s1
	s_waitcnt lgkmcnt(11)
	v_mul_f64 v[128:129], v[50:51], v[122:123]
	v_mul_f64 v[50:51], v[50:51], v[120:121]
	s_mov_b32 s18, 0xe976ee23
	s_mov_b32 s8, 0x429ad128
	s_mov_b32 s19, 0x3fe11646
	s_mov_b32 s9, 0xbfebfeb5
	s_mov_b32 s10, 0xb247c609
	s_mov_b32 s11, 0xbfd5d0dc
	s_mov_b32 s13, 0x3fd5d0dc
	s_mov_b32 s12, s10
	s_mov_b32 s20, 0x36b3c0b5
	s_mov_b32 s21, 0x3fac98ee
	s_mov_b32 s14, 0x5476071b
	s_mov_b32 s15, 0x3fe77f67
	s_mov_b32 s17, 0xbfe77f67
	s_mov_b32 s16, s14
	s_mov_b32 s24, 0x37c3f68c
	s_mov_b32 s26, 0xaaaaaaaa
	s_mov_b32 s25, 0xbfdc38aa
	s_mov_b32 s27, 0xbff2aaaa
	s_delay_alu instid0(VALU_DEP_2) | instskip(NEXT) | instid1(VALU_DEP_2)
	v_fma_f64 v[128:129], v[48:49], v[120:121], v[128:129]
	v_fma_f64 v[48:49], v[48:49], v[122:123], -v[50:51]
	s_waitcnt lgkmcnt(9)
	v_mul_f64 v[50:51], v[46:47], v[118:119]
	v_mul_f64 v[46:47], v[46:47], v[116:117]
	s_delay_alu instid0(VALU_DEP_2) | instskip(NEXT) | instid1(VALU_DEP_2)
	v_fma_f64 v[50:51], v[44:45], v[116:117], v[50:51]
	v_fma_f64 v[44:45], v[44:45], v[118:119], -v[46:47]
	s_waitcnt lgkmcnt(1)
	v_mul_f64 v[46:47], v[58:59], v[126:127]
	v_mul_f64 v[58:59], v[58:59], v[124:125]
	s_delay_alu instid0(VALU_DEP_2) | instskip(NEXT) | instid1(VALU_DEP_2)
	v_fma_f64 v[46:47], v[56:57], v[124:125], v[46:47]
	v_fma_f64 v[56:57], v[56:57], v[126:127], -v[58:59]
	v_mul_f64 v[58:59], v[54:55], v[114:115]
	v_mul_f64 v[54:55], v[54:55], v[112:113]
	s_delay_alu instid0(VALU_DEP_2) | instskip(NEXT) | instid1(VALU_DEP_2)
	v_fma_f64 v[58:59], v[52:53], v[112:113], v[58:59]
	v_fma_f64 v[52:53], v[52:53], v[114:115], -v[54:55]
	;; [unrolled: 5-line block ×4, first 2 shown]
	s_waitcnt lgkmcnt(0)
	v_mul_f64 v[62:63], v[74:75], v[110:111]
	v_mul_f64 v[74:75], v[74:75], v[108:109]
	s_delay_alu instid0(VALU_DEP_2) | instskip(NEXT) | instid1(VALU_DEP_2)
	v_fma_f64 v[62:63], v[72:73], v[108:109], v[62:63]
	v_fma_f64 v[72:73], v[72:73], v[110:111], -v[74:75]
	v_mul_f64 v[74:75], v[70:71], v[98:99]
	v_mul_f64 v[70:71], v[70:71], v[96:97]
	s_delay_alu instid0(VALU_DEP_3) | instskip(NEXT) | instid1(VALU_DEP_3)
	v_add_f64 v[106:107], v[64:65], v[72:73]
	v_fma_f64 v[74:75], v[68:69], v[96:97], v[74:75]
	s_delay_alu instid0(VALU_DEP_3)
	v_fma_f64 v[68:69], v[68:69], v[98:99], -v[70:71]
	v_mul_f64 v[70:71], v[14:15], v[94:95]
	v_mul_f64 v[14:15], v[14:15], v[92:93]
	v_add_f64 v[96:97], v[44:45], v[52:53]
	v_add_f64 v[44:45], v[44:45], -v[52:53]
	v_add_f64 v[108:109], v[60:61], v[68:69]
	v_fma_f64 v[70:71], v[12:13], v[92:93], v[70:71]
	v_fma_f64 v[92:93], v[12:13], v[94:95], -v[14:15]
	v_mul_f64 v[12:13], v[254:255], v[90:91]
	v_add_f64 v[60:61], v[60:61], -v[68:69]
	v_add_f64 v[112:113], v[108:109], v[106:107]
	s_delay_alu instid0(VALU_DEP_3) | instskip(SKIP_1) | instid1(VALU_DEP_1)
	v_fma_f64 v[94:95], v[252:253], v[88:89], v[12:13]
	v_mul_f64 v[12:13], v[254:255], v[88:89]
	v_fma_f64 v[88:89], v[252:253], v[90:91], -v[12:13]
	v_mul_f64 v[12:13], v[42:43], v[86:87]
	s_delay_alu instid0(VALU_DEP_2) | instskip(NEXT) | instid1(VALU_DEP_2)
	v_add_f64 v[98:99], v[92:93], v[88:89]
	v_fma_f64 v[90:91], v[40:41], v[84:85], v[12:13]
	v_mul_f64 v[12:13], v[42:43], v[84:85]
	v_add_f64 v[52:53], v[88:89], -v[92:93]
	s_delay_alu instid0(VALU_DEP_4) | instskip(NEXT) | instid1(VALU_DEP_3)
	v_add_f64 v[68:69], v[98:99], -v[96:97]
	v_fma_f64 v[40:41], v[40:41], v[86:87], -v[12:13]
	v_mul_f64 v[12:13], v[38:39], v[82:83]
	v_add_f64 v[86:87], v[48:49], v[56:57]
	v_add_f64 v[48:49], v[48:49], -v[56:57]
	v_add_f64 v[56:57], v[66:67], -v[74:75]
	s_delay_alu instid0(VALU_DEP_4)
	v_fma_f64 v[42:43], v[36:37], v[80:81], v[12:13]
	v_mul_f64 v[12:13], v[38:39], v[80:81]
	v_add_f64 v[38:39], v[128:129], v[46:47]
	v_add_f64 v[80:81], v[50:51], v[58:59]
	v_add_f64 v[50:51], v[50:51], -v[58:59]
	v_add_f64 v[58:59], v[94:95], -v[70:71]
	;; [unrolled: 1-line block ×3, first 2 shown]
	v_add_f64 v[102:103], v[90:91], v[42:43]
	v_fma_f64 v[36:37], v[36:37], v[82:83], -v[12:13]
	v_add_f64 v[82:83], v[70:71], v[94:95]
	v_add_f64 v[12:13], v[80:81], v[38:39]
	v_add_f64 v[70:71], v[96:97], -v[86:87]
	v_add_f64 v[42:43], v[42:43], -v[90:91]
	;; [unrolled: 1-line block ×4, first 2 shown]
	v_add_f64 v[110:111], v[40:41], v[36:37]
	v_add_f64 v[36:37], v[36:37], -v[40:41]
	v_add_f64 v[84:85], v[82:83], v[12:13]
	v_add_f64 v[12:13], v[96:97], v[86:87]
	v_add_f64 v[40:41], v[54:55], -v[62:63]
	v_add_f64 v[92:93], v[42:43], -v[56:57]
	v_add_f64 v[112:113], v[110:111], v[112:113]
	v_add_f64 v[94:95], v[36:37], -v[60:61]
	v_add_f64 v[100:101], v[98:99], v[12:13]
	v_add_f64 v[12:13], v[32:33], v[84:85]
	;; [unrolled: 1-line block ×3, first 2 shown]
	v_add_f64 v[54:55], v[64:65], -v[72:73]
	v_add_f64 v[62:63], v[38:39], -v[82:83]
	;; [unrolled: 1-line block ×6, first 2 shown]
	v_add_f64 v[30:31], v[30:31], v[112:113]
	v_add_f64 v[14:15], v[34:35], v[100:101]
	;; [unrolled: 1-line block ×3, first 2 shown]
	v_add_f64 v[66:67], v[86:87], -v[98:99]
	v_add_f64 v[86:87], v[58:59], v[50:51]
	v_add_f64 v[50:51], v[50:51], -v[46:47]
	v_add_f64 v[58:59], v[46:47], -v[58:59]
	v_mul_f64 v[62:63], v[62:63], s[22:23]
	v_add_f64 v[72:73], v[32:33], -v[102:103]
	v_add_f64 v[104:105], v[34:35], v[32:33]
	v_add_f64 v[74:75], v[102:103], -v[34:35]
	v_add_f64 v[46:47], v[86:87], v[46:47]
	v_add_f64 v[86:87], v[52:53], v[44:45]
	v_add_f64 v[44:45], v[44:45], -v[48:49]
	v_add_f64 v[52:53], v[48:49], -v[52:53]
	;; [unrolled: 1-line block ×4, first 2 shown]
	v_mul_f64 v[72:73], v[72:73], s[22:23]
	v_add_f64 v[104:105], v[102:103], v[104:105]
	v_add_f64 v[48:49], v[86:87], v[48:49]
	;; [unrolled: 1-line block ×3, first 2 shown]
	v_add_f64 v[56:57], v[56:57], -v[40:41]
	v_add_f64 v[42:43], v[40:41], -v[42:43]
	v_mul_f64 v[34:35], v[34:35], s[22:23]
	v_add_f64 v[28:29], v[28:29], v[104:105]
	v_add_f64 v[40:41], v[86:87], v[40:41]
	;; [unrolled: 1-line block ×3, first 2 shown]
	v_add_f64 v[60:61], v[60:61], -v[54:55]
	v_add_f64 v[36:37], v[54:55], -v[36:37]
	s_delay_alu instid0(VALU_DEP_3) | instskip(SKIP_2) | instid1(VALU_DEP_2)
	v_add_f64 v[54:55], v[86:87], v[54:55]
	v_mul_f64 v[86:87], v[88:89], s[18:19]
	v_mul_f64 v[88:89], v[50:51], s[8:9]
	v_fma_f64 v[50:51], v[50:51], s[8:9], -v[86:87]
	v_fma_f64 v[86:87], v[58:59], s[10:11], v[86:87]
	s_delay_alu instid0(VALU_DEP_3)
	v_fma_f64 v[58:59], v[58:59], s[12:13], -v[88:89]
	v_mul_f64 v[88:89], v[90:91], s[18:19]
	v_mul_f64 v[90:91], v[44:45], s[8:9]
	v_fma_f64 v[50:51], v[46:47], s[24:25], v[50:51]
	v_fma_f64 v[86:87], v[46:47], s[24:25], v[86:87]
	;; [unrolled: 1-line block ×3, first 2 shown]
	v_fma_f64 v[44:45], v[44:45], s[8:9], -v[88:89]
	v_fma_f64 v[88:89], v[52:53], s[10:11], v[88:89]
	v_fma_f64 v[52:53], v[52:53], s[12:13], -v[90:91]
	v_mul_f64 v[90:91], v[64:65], s[20:21]
	v_fma_f64 v[64:65], v[64:65], s[20:21], v[62:63]
	v_fma_f64 v[44:45], v[48:49], s[24:25], v[44:45]
	;; [unrolled: 1-line block ×4, first 2 shown]
	v_fma_f64 v[90:91], v[38:39], s[14:15], -v[90:91]
	v_fma_f64 v[38:39], v[38:39], s[16:17], -v[62:63]
	v_mul_f64 v[62:63], v[66:67], s[22:23]
	v_mul_f64 v[66:67], v[68:69], s[20:21]
	s_delay_alu instid0(VALU_DEP_2) | instskip(NEXT) | instid1(VALU_DEP_2)
	v_fma_f64 v[68:69], v[68:69], s[20:21], v[62:63]
	v_fma_f64 v[66:67], v[70:71], s[14:15], -v[66:67]
	v_fma_f64 v[62:63], v[70:71], s[16:17], -v[62:63]
	v_mul_f64 v[70:71], v[92:93], s[18:19]
	v_mul_f64 v[92:93], v[56:57], s[8:9]
	s_delay_alu instid0(VALU_DEP_2) | instskip(SKIP_1) | instid1(VALU_DEP_3)
	v_fma_f64 v[56:57], v[56:57], s[8:9], -v[70:71]
	v_fma_f64 v[70:71], v[42:43], s[10:11], v[70:71]
	v_fma_f64 v[42:43], v[42:43], s[12:13], -v[92:93]
	v_mul_f64 v[92:93], v[94:95], s[18:19]
	v_mul_f64 v[94:95], v[60:61], s[8:9]
	s_delay_alu instid0(VALU_DEP_4) | instskip(SKIP_1) | instid1(VALU_DEP_4)
	v_fma_f64 v[88:89], v[40:41], s[24:25], v[70:71]
	v_fma_f64 v[70:71], v[40:41], s[24:25], v[56:57]
	v_fma_f64 v[60:61], v[60:61], s[8:9], -v[92:93]
	v_fma_f64 v[92:93], v[36:37], s[10:11], v[92:93]
	v_fma_f64 v[36:37], v[36:37], s[12:13], -v[94:95]
	v_mul_f64 v[94:95], v[74:75], s[20:21]
	v_fma_f64 v[74:75], v[74:75], s[20:21], v[72:73]
	v_fma_f64 v[72:73], v[32:33], s[16:17], -v[72:73]
	v_fma_f64 v[60:61], v[54:55], s[24:25], v[60:61]
	v_fma_f64 v[92:93], v[54:55], s[24:25], v[92:93]
	;; [unrolled: 1-line block ×4, first 2 shown]
	v_fma_f64 v[32:33], v[32:33], s[14:15], -v[94:95]
	v_mul_f64 v[94:95], v[80:81], s[20:21]
	v_fma_f64 v[80:81], v[80:81], s[20:21], v[34:35]
	v_fma_f64 v[34:35], v[82:83], s[16:17], -v[34:35]
	v_add_f64 v[54:55], v[38:39], v[36:37]
	v_fma_f64 v[38:39], v[100:101], s[26:27], v[14:15]
	v_fma_f64 v[82:83], v[82:83], s[14:15], -v[94:95]
	v_fma_f64 v[94:95], v[40:41], s[24:25], v[42:43]
	v_fma_f64 v[40:41], v[104:105], s[26:27], v[28:29]
	;; [unrolled: 1-line block ×3, first 2 shown]
	v_add_f64 v[52:53], v[64:65], v[36:37]
	v_add_f64 v[36:37], v[90:91], v[36:37]
	;; [unrolled: 1-line block ×11, first 2 shown]
	v_add_f64 v[32:33], v[36:37], -v[44:45]
	v_add_f64 v[36:37], v[44:45], v[36:37]
	v_add_f64 v[40:41], v[48:49], v[54:55]
	v_add_f64 v[44:45], v[54:55], -v[48:49]
	v_add_f64 v[48:49], v[58:59], v[52:53]
	v_add_f64 v[52:53], v[52:53], -v[58:59]
	;; [unrolled: 2-line block ×4, first 2 shown]
	v_add_f64 v[50:51], v[56:57], -v[86:87]
	v_add_f64 v[46:47], v[46:47], v[62:63]
	v_add_f64 v[58:59], v[70:71], v[66:67]
	v_add_f64 v[62:63], v[66:67], -v[70:71]
	v_add_f64 v[66:67], v[72:73], -v[94:95]
	v_add_f64 v[70:71], v[94:95], v[72:73]
	v_add_f64 v[72:73], v[92:93], v[82:83]
	v_add_f64 v[74:75], v[84:85], -v[88:89]
	;; [unrolled: 4-line block ×3, first 2 shown]
	v_add_f64 v[80:81], v[82:83], -v[92:93]
	v_add_f64 v[82:83], v[88:89], v[84:85]
	ds_store_b128 v172, v[12:15]
	ds_store_b128 v172, v[28:31] offset:1008
	ds_store_b128 v172, v[48:51] offset:2880
	;; [unrolled: 1-line block ×13, first 2 shown]
	s_and_saveexec_b32 s1, s0
	s_cbranch_execz .LBB0_25
; %bb.24:
	s_clause 0x5
	scratch_load_b128 v[64:67], off, off offset:944
	scratch_load_b128 v[68:71], off, off offset:960
	;; [unrolled: 1-line block ×6, first 2 shown]
	s_waitcnt vmcnt(5)
	v_mul_f64 v[12:13], v[66:67], v[76:77]
	s_waitcnt vmcnt(4)
	v_mul_f64 v[28:29], v[70:71], v[24:25]
	;; [unrolled: 2-line block ×4, first 2 shown]
	v_mul_f64 v[32:33], v[62:63], v[10:11]
	v_mul_f64 v[34:35], v[66:67], v[78:79]
	;; [unrolled: 1-line block ×4, first 2 shown]
	s_waitcnt vmcnt(1)
	v_mul_f64 v[40:41], v[50:51], v[18:19]
	s_waitcnt vmcnt(0)
	v_mul_f64 v[42:43], v[54:55], v[6:7]
	v_mul_f64 v[44:45], v[54:55], v[4:5]
	;; [unrolled: 1-line block ×3, first 2 shown]
	v_fma_f64 v[12:13], v[64:65], v[78:79], -v[12:13]
	v_fma_f64 v[10:11], v[60:61], v[10:11], -v[14:15]
	;; [unrolled: 1-line block ×4, first 2 shown]
	v_fma_f64 v[8:9], v[60:61], v[8:9], v[32:33]
	v_fma_f64 v[26:27], v[64:65], v[76:77], v[34:35]
	;; [unrolled: 1-line block ×6, first 2 shown]
	v_fma_f64 v[6:7], v[52:53], v[6:7], -v[44:45]
	v_fma_f64 v[18:19], v[48:49], v[18:19], -v[46:47]
	v_add_f64 v[28:29], v[10:11], v[12:13]
	v_add_f64 v[10:11], v[10:11], -v[12:13]
	v_add_f64 v[30:31], v[22:23], v[14:15]
	v_add_f64 v[14:15], v[22:23], -v[14:15]
	;; [unrolled: 2-line block ×4, first 2 shown]
	v_add_f64 v[36:37], v[16:17], -v[4:5]
	v_add_f64 v[4:5], v[4:5], v[16:17]
	v_add_f64 v[24:25], v[6:7], v[18:19]
	v_add_f64 v[6:7], v[18:19], -v[6:7]
	v_add_f64 v[16:17], v[30:31], v[28:29]
	v_add_f64 v[42:43], v[14:15], -v[10:11]
	v_add_f64 v[12:13], v[34:35], v[32:33]
	v_add_f64 v[38:39], v[20:21], -v[8:9]
	v_add_f64 v[18:19], v[36:37], -v[20:21]
	v_add_f64 v[26:27], v[32:33], -v[4:5]
	;; [unrolled: 1-line block ×5, first 2 shown]
	v_add_f64 v[20:21], v[36:37], v[20:21]
	v_add_f64 v[14:15], v[6:7], v[14:15]
	v_add_f64 v[6:7], v[10:11], -v[6:7]
	v_add_f64 v[28:29], v[30:31], -v[28:29]
	v_add_f64 v[32:33], v[34:35], -v[32:33]
	v_add_f64 v[16:17], v[24:25], v[16:17]
	v_add_f64 v[24:25], v[24:25], -v[30:31]
	v_mul_f64 v[46:47], v[42:43], s[8:9]
	v_add_f64 v[12:13], v[4:5], v[12:13]
	v_add_f64 v[4:5], v[4:5], -v[34:35]
	v_mul_f64 v[18:19], v[18:19], s[18:19]
	v_mul_f64 v[26:27], v[26:27], s[22:23]
	;; [unrolled: 1-line block ×5, first 2 shown]
	v_add_f64 v[8:9], v[20:21], v[8:9]
	v_add_f64 v[10:11], v[14:15], v[10:11]
	;; [unrolled: 1-line block ×3, first 2 shown]
	v_mul_f64 v[30:31], v[24:25], s[20:21]
	v_add_f64 v[0:1], v[0:1], v[12:13]
	v_mul_f64 v[34:35], v[4:5], s[20:21]
	v_fma_f64 v[14:15], v[44:45], s[10:11], v[18:19]
	v_fma_f64 v[4:5], v[4:5], s[20:21], v[26:27]
	;; [unrolled: 1-line block ×3, first 2 shown]
	v_fma_f64 v[24:25], v[44:45], s[12:13], -v[36:37]
	v_fma_f64 v[22:23], v[28:29], s[16:17], -v[22:23]
	;; [unrolled: 1-line block ×5, first 2 shown]
	v_fma_f64 v[16:17], v[16:17], s[26:27], v[2:3]
	v_fma_f64 v[28:29], v[28:29], s[14:15], -v[30:31]
	v_fma_f64 v[30:31], v[6:7], s[10:11], v[40:41]
	v_fma_f64 v[6:7], v[6:7], s[12:13], -v[46:47]
	;; [unrolled: 2-line block ×3, first 2 shown]
	v_fma_f64 v[34:35], v[8:9], s[24:25], v[14:15]
	v_fma_f64 v[24:25], v[8:9], s[24:25], v[24:25]
	;; [unrolled: 1-line block ×4, first 2 shown]
	v_add_f64 v[20:21], v[20:21], v[16:17]
	v_add_f64 v[22:23], v[22:23], v[16:17]
	;; [unrolled: 1-line block ×3, first 2 shown]
	v_fma_f64 v[28:29], v[10:11], s[24:25], v[30:31]
	v_add_f64 v[4:5], v[4:5], v[12:13]
	v_fma_f64 v[30:31], v[10:11], s[24:25], v[6:7]
	v_add_f64 v[38:39], v[26:27], v[12:13]
	v_add_f64 v[12:13], v[32:33], v[12:13]
	v_add_f64 v[26:27], v[20:21], -v[34:35]
	v_add_f64 v[10:11], v[24:25], v[22:23]
	v_add_f64 v[22:23], v[22:23], -v[24:25]
	v_add_f64 v[6:7], v[34:35], v[20:21]
	v_add_f64 v[24:25], v[28:29], v[4:5]
	v_add_f64 v[14:15], v[16:17], -v[8:9]
	v_add_f64 v[20:21], v[30:31], v[38:39]
	;; [unrolled: 3-line block ×3, first 2 shown]
	v_add_f64 v[8:9], v[38:39], -v[30:31]
	v_add_f64 v[4:5], v[4:5], -v[28:29]
	ds_store_b128 v172, v[0:3] offset:2016
	ds_store_b128 v172, v[24:27] offset:4896
	ds_store_b128 v172, v[20:23] offset:7776
	ds_store_b128 v172, v[16:19] offset:10656
	ds_store_b128 v172, v[12:15] offset:13536
	ds_store_b128 v172, v[8:11] offset:16416
	ds_store_b128 v172, v[4:7] offset:19296
.LBB0_25:
	s_or_b32 exec_lo, exec_lo, s1
	s_waitcnt lgkmcnt(0)
	s_barrier
	buffer_gl0_inv
	ds_load_b128 v[0:3], v172
	ds_load_b128 v[4:7], v172 offset:10080
	ds_load_b128 v[8:11], v172 offset:1008
	;; [unrolled: 1-line block ×5, first 2 shown]
	s_clause 0x2
	scratch_load_b128 v[93:96], off, off offset:8
	scratch_load_b64 v[24:25], off, off
	scratch_load_b128 v[105:108], off, off offset:312
	v_mad_u64_u32 v[86:87], null, s4, v173, 0
	s_mov_b32 s0, 0x1a01a01a
	s_mov_b32 s1, 0x3f4a01a0
	s_mul_i32 s9, s5, 0x2760
	s_mul_hi_u32 s10, s4, 0x2760
	s_mul_hi_u32 s12, s4, 0xffffdc90
	s_add_i32 s10, s10, s9
	s_mul_i32 s11, s5, 0xffffdc90
	s_mul_i32 s8, s4, 0xffffdc90
	scratch_load_b128 v[101:104], off, off offset:296 ; 16-byte Folded Reload
	s_waitcnt vmcnt(3) lgkmcnt(5)
	v_mul_f64 v[64:65], v[95:96], v[2:3]
	v_mul_f64 v[66:67], v[95:96], v[0:1]
	scratch_load_b128 v[95:98], off, off offset:24 ; 16-byte Folded Reload
	s_waitcnt vmcnt(3)
	v_mov_b32_e32 v92, v24
	ds_load_b128 v[24:27], v172 offset:12096
	v_mad_u64_u32 v[84:85], null, s6, v92, 0
	s_mul_i32 s6, s4, 0x2760
	s_sub_i32 s4, s12, s4
	s_delay_alu instid0(SALU_CYCLE_1)
	s_add_i32 s4, s4, s11
	s_waitcnt vmcnt(1) lgkmcnt(3)
	v_mul_f64 v[76:77], v[103:104], v[14:15]
	v_mul_f64 v[78:79], v[103:104], v[12:13]
	v_fma_f64 v[64:65], v[93:94], v[0:1], v[64:65]
	v_fma_f64 v[66:67], v[93:94], v[2:3], -v[66:67]
	s_delay_alu instid0(VALU_DEP_4) | instskip(NEXT) | instid1(VALU_DEP_4)
	v_fma_f64 v[76:77], v[101:102], v[12:13], v[76:77]
	v_fma_f64 v[78:79], v[101:102], v[14:15], -v[78:79]
	s_waitcnt vmcnt(0)
	v_mul_f64 v[72:73], v[97:98], v[10:11]
	v_mul_f64 v[74:75], v[97:98], v[8:9]
	scratch_load_b128 v[97:100], off, off offset:56 ; 16-byte Folded Reload
	ds_load_b128 v[28:31], v172 offset:13104
	ds_load_b128 v[32:35], v172 offset:4032
	;; [unrolled: 1-line block ×9, first 2 shown]
	s_clause 0x1
	scratch_load_b128 v[110:113], off, off offset:40
	scratch_load_b128 v[116:119], off, off offset:232
	v_mul_f64 v[68:69], v[107:108], v[6:7]
	v_mul_f64 v[70:71], v[107:108], v[4:5]
	scratch_load_b128 v[126:129], off, off offset:248 ; 16-byte Folded Reload
	ds_load_b128 v[0:3], v172 offset:18144
	scratch_load_b128 v[122:125], off, off offset:152 ; 16-byte Folded Reload
	v_fma_f64 v[72:73], v[95:96], v[8:9], v[72:73]
	v_fma_f64 v[74:75], v[95:96], v[10:11], -v[74:75]
	v_fma_f64 v[68:69], v[105:106], v[4:5], v[68:69]
	v_fma_f64 v[70:71], v[105:106], v[6:7], -v[70:71]
	v_mad_u64_u32 v[5:6], null, s7, v92, v[85:86]
	s_delay_alu instid0(VALU_DEP_1) | instskip(NEXT) | instid1(VALU_DEP_1)
	v_dual_mov_b32 v4, v87 :: v_dual_mov_b32 v85, v5
	v_mad_u64_u32 v[6:7], null, s5, v173, v[4:5]
	s_delay_alu instid0(VALU_DEP_2) | instskip(NEXT) | instid1(VALU_DEP_2)
	v_lshlrev_b64 v[4:5], 4, v[84:85]
	v_mov_b32_e32 v87, v6
	v_mul_f64 v[6:7], v[66:67], s[0:1]
	s_delay_alu instid0(VALU_DEP_3) | instskip(NEXT) | instid1(VALU_DEP_4)
	v_add_co_u32 v108, vcc_lo, s2, v4
	v_add_co_ci_u32_e32 v109, vcc_lo, s3, v5, vcc_lo
	v_mul_f64 v[4:5], v[64:65], s[0:1]
	v_lshlrev_b64 v[86:87], 4, v[86:87]
	v_mul_f64 v[12:13], v[72:73], s[0:1]
	v_mul_f64 v[14:15], v[74:75], s[0:1]
	s_delay_alu instid0(VALU_DEP_3) | instskip(NEXT) | instid1(VALU_DEP_4)
	v_add_co_u32 v64, vcc_lo, v108, v86
	v_add_co_ci_u32_e32 v65, vcc_lo, v109, v87, vcc_lo
	v_mul_f64 v[8:9], v[68:69], s[0:1]
	v_mul_f64 v[10:11], v[70:71], s[0:1]
	s_delay_alu instid0(VALU_DEP_4) | instskip(NEXT) | instid1(VALU_DEP_4)
	v_add_co_u32 v70, vcc_lo, v64, s6
	v_add_co_ci_u32_e32 v71, vcc_lo, s10, v65, vcc_lo
	s_delay_alu instid0(VALU_DEP_2) | instskip(NEXT) | instid1(VALU_DEP_2)
	v_add_co_u32 v72, vcc_lo, v70, s8
	v_add_co_ci_u32_e32 v73, vcc_lo, s4, v71, vcc_lo
	s_waitcnt vmcnt(4) lgkmcnt(12)
	v_mul_f64 v[80:81], v[99:100], v[18:19]
	v_mul_f64 v[82:83], v[99:100], v[16:17]
	s_waitcnt vmcnt(0) lgkmcnt(6)
	v_mul_f64 v[84:85], v[124:125], v[42:43]
	v_mul_f64 v[104:105], v[124:125], v[40:41]
	s_delay_alu instid0(VALU_DEP_4) | instskip(NEXT) | instid1(VALU_DEP_4)
	v_fma_f64 v[80:81], v[97:98], v[16:17], v[80:81]
	v_fma_f64 v[82:83], v[97:98], v[18:19], -v[82:83]
	v_mul_f64 v[96:97], v[118:119], v[30:31]
	v_mul_f64 v[98:99], v[118:119], v[28:29]
	scratch_load_b128 v[118:121], off, off offset:136 ; 16-byte Folded Reload
	v_mul_f64 v[92:93], v[112:113], v[22:23]
	v_mul_f64 v[94:95], v[112:113], v[20:21]
	scratch_load_b128 v[112:115], off, off offset:72 ; 16-byte Folded Reload
	v_mul_f64 v[16:17], v[76:77], s[0:1]
	v_mul_f64 v[18:19], v[78:79], s[0:1]
	v_add_co_u32 v76, vcc_lo, v72, s6
	v_add_co_ci_u32_e32 v77, vcc_lo, s10, v73, vcc_lo
	v_fma_f64 v[40:41], v[122:123], v[40:41], v[84:85]
	v_fma_f64 v[42:43], v[122:123], v[42:43], -v[104:105]
	v_fma_f64 v[28:29], v[116:117], v[28:29], v[96:97]
	v_fma_f64 v[30:31], v[116:117], v[30:31], -v[98:99]
	;; [unrolled: 2-line block ×3, first 2 shown]
	s_waitcnt vmcnt(1)
	v_mul_f64 v[106:107], v[120:121], v[38:39]
	v_mul_f64 v[74:75], v[120:121], v[36:37]
	s_waitcnt vmcnt(0)
	v_mul_f64 v[100:101], v[114:115], v[34:35]
	v_mul_f64 v[102:103], v[114:115], v[32:33]
	scratch_load_b128 v[114:117], off, off offset:120 ; 16-byte Folded Reload
	v_mul_f64 v[88:89], v[128:129], v[26:27]
	v_mul_f64 v[90:91], v[128:129], v[24:25]
	s_clause 0x1
	global_store_b128 v[64:65], v[4:7], off
	global_store_b128 v[70:71], v[8:11], off
	ds_load_b128 v[4:7], v172 offset:8064
	v_fma_f64 v[36:37], v[118:119], v[36:37], v[106:107]
	v_fma_f64 v[38:39], v[118:119], v[38:39], -v[74:75]
	v_fma_f64 v[32:33], v[112:113], v[32:33], v[100:101]
	v_fma_f64 v[34:35], v[112:113], v[34:35], -v[102:103]
	;; [unrolled: 2-line block ×3, first 2 shown]
	v_mul_f64 v[24:25], v[80:81], s[0:1]
	v_mul_f64 v[26:27], v[82:83], s[0:1]
	v_add_co_u32 v80, vcc_lo, v76, s8
	v_add_co_ci_u32_e32 v81, vcc_lo, s4, v77, vcc_lo
	s_clause 0x2
	global_store_b128 v[72:73], v[12:15], off
	global_store_b128 v[76:77], v[16:19], off
	;; [unrolled: 1-line block ×3, first 2 shown]
	s_clause 0x2
	scratch_load_b128 v[130:133], off, off offset:200
	scratch_load_b128 v[108:111], off, off offset:88
	;; [unrolled: 1-line block ×3, first 2 shown]
	v_mul_f64 v[22:23], v[90:91], s[0:1]
	ds_load_b128 v[8:11], v172 offset:9072
	ds_load_b128 v[16:19], v172 offset:19152
	v_mul_f64 v[12:13], v[66:67], s[0:1]
	v_mul_f64 v[24:25], v[28:29], s[0:1]
	;; [unrolled: 1-line block ×7, first 2 shown]
	v_add_co_u32 v86, vcc_lo, v80, s6
	v_add_co_ci_u32_e32 v87, vcc_lo, s10, v81, vcc_lo
	s_delay_alu instid0(VALU_DEP_2) | instskip(NEXT) | instid1(VALU_DEP_2)
	v_add_co_u32 v84, vcc_lo, v86, s8
	v_add_co_ci_u32_e32 v85, vcc_lo, s4, v87, vcc_lo
	s_delay_alu instid0(VALU_DEP_2) | instskip(NEXT) | instid1(VALU_DEP_2)
	v_add_co_u32 v74, vcc_lo, v84, s6
	v_add_co_ci_u32_e32 v75, vcc_lo, s10, v85, vcc_lo
	s_waitcnt vmcnt(3) lgkmcnt(8)
	v_mul_f64 v[78:79], v[116:117], v[46:47]
	v_mul_f64 v[82:83], v[116:117], v[44:45]
	s_delay_alu instid0(VALU_DEP_2) | instskip(NEXT) | instid1(VALU_DEP_2)
	v_fma_f64 v[44:45], v[114:115], v[44:45], v[78:79]
	v_fma_f64 v[46:47], v[114:115], v[46:47], -v[82:83]
	v_add_co_u32 v78, vcc_lo, v74, s8
	v_add_co_ci_u32_e32 v79, vcc_lo, s4, v75, vcc_lo
	s_waitcnt vmcnt(2) lgkmcnt(4)
	v_mul_f64 v[72:73], v[132:133], v[62:63]
	v_mul_f64 v[76:77], v[132:133], v[60:61]
	scratch_load_b128 v[132:135], off, off offset:216 ; 16-byte Folded Reload
	s_waitcnt vmcnt(2)
	v_mul_f64 v[64:65], v[110:111], v[50:51]
	v_mul_f64 v[66:67], v[110:111], v[48:49]
	scratch_load_b128 v[110:113], off, off offset:104 ; 16-byte Folded Reload
	s_waitcnt vmcnt(2)
	v_mul_f64 v[32:33], v[126:127], v[54:55]
	v_mul_f64 v[34:35], v[126:127], v[52:53]
	scratch_load_b128 v[126:129], off, off offset:184 ; 16-byte Folded Reload
	v_fma_f64 v[48:49], v[108:109], v[48:49], v[64:65]
	v_fma_f64 v[50:51], v[108:109], v[50:51], -v[66:67]
	v_add_co_u32 v64, vcc_lo, v78, s6
	v_add_co_ci_u32_e32 v65, vcc_lo, s10, v79, vcc_lo
	s_delay_alu instid0(VALU_DEP_2) | instskip(NEXT) | instid1(VALU_DEP_2)
	v_add_co_u32 v66, vcc_lo, v64, s8
	v_add_co_ci_u32_e32 v67, vcc_lo, s4, v65, vcc_lo
	s_waitcnt vmcnt(2) lgkmcnt(3)
	v_mul_f64 v[90:91], v[134:135], v[2:3]
	v_mul_f64 v[92:93], v[134:135], v[0:1]
	scratch_load_b128 v[134:137], off, off offset:264 ; 16-byte Folded Reload
	s_waitcnt vmcnt(2)
	v_mul_f64 v[68:69], v[112:113], v[58:59]
	v_mul_f64 v[70:71], v[112:113], v[56:57]
	s_waitcnt vmcnt(1) lgkmcnt(2)
	v_mul_f64 v[80:81], v[128:129], v[6:7]
	v_mul_f64 v[88:89], v[128:129], v[4:5]
	s_delay_alu instid0(VALU_DEP_4) | instskip(NEXT) | instid1(VALU_DEP_4)
	v_fma_f64 v[56:57], v[110:111], v[56:57], v[68:69]
	v_fma_f64 v[58:59], v[110:111], v[58:59], -v[70:71]
	s_waitcnt vmcnt(0) lgkmcnt(1)
	v_mul_f64 v[94:95], v[136:137], v[10:11]
	v_mul_f64 v[96:97], v[136:137], v[8:9]
	scratch_load_b128 v[136:139], off, off offset:280 ; 16-byte Folded Reload
	global_store_b128 v[86:87], v[20:23], off
	global_store_b128 v[84:85], v[12:15], off
	;; [unrolled: 1-line block ×4, first 2 shown]
	v_fma_f64 v[20:21], v[124:125], v[52:53], v[32:33]
	v_fma_f64 v[22:23], v[124:125], v[54:55], -v[34:35]
	v_fma_f64 v[24:25], v[130:131], v[60:61], v[72:73]
	v_fma_f64 v[26:27], v[130:131], v[62:63], -v[76:77]
	;; [unrolled: 2-line block ×4, first 2 shown]
	v_mul_f64 v[0:1], v[40:41], s[0:1]
	v_mul_f64 v[2:3], v[42:43], s[0:1]
	v_mul_f64 v[4:5], v[36:37], s[0:1]
	v_mul_f64 v[6:7], v[38:39], s[0:1]
	v_mul_f64 v[12:13], v[48:49], s[0:1]
	v_mul_f64 v[14:15], v[50:51], s[0:1]
	v_fma_f64 v[52:53], v[134:135], v[8:9], v[94:95]
	v_fma_f64 v[54:55], v[134:135], v[10:11], -v[96:97]
	v_mul_f64 v[8:9], v[44:45], s[0:1]
	v_mul_f64 v[10:11], v[46:47], s[0:1]
	v_add_co_u32 v44, vcc_lo, v66, s6
	v_add_co_ci_u32_e32 v45, vcc_lo, s10, v67, vcc_lo
	v_mul_f64 v[20:21], v[20:21], s[0:1]
	v_mul_f64 v[22:23], v[22:23], s[0:1]
	s_delay_alu instid0(VALU_DEP_4)
	v_add_co_u32 v46, vcc_lo, v44, s8
	v_mul_f64 v[24:25], v[24:25], s[0:1]
	v_mul_f64 v[26:27], v[26:27], s[0:1]
	;; [unrolled: 1-line block ×4, first 2 shown]
	v_add_co_ci_u32_e32 v47, vcc_lo, s4, v45, vcc_lo
	v_mul_f64 v[32:33], v[32:33], s[0:1]
	v_mul_f64 v[34:35], v[34:35], s[0:1]
	v_add_co_u32 v48, vcc_lo, v46, s6
	s_delay_alu instid0(VALU_DEP_4)
	v_add_co_ci_u32_e32 v49, vcc_lo, s10, v47, vcc_lo
	global_store_b128 v[64:65], v[0:3], off
	v_add_co_u32 v0, vcc_lo, v48, s8
	v_add_co_ci_u32_e32 v1, vcc_lo, s4, v49, vcc_lo
	global_store_b128 v[66:67], v[4:7], off
	v_add_co_u32 v2, vcc_lo, v0, s6
	v_add_co_ci_u32_e32 v3, vcc_lo, s10, v1, vcc_lo
	s_delay_alu instid0(VALU_DEP_2) | instskip(NEXT) | instid1(VALU_DEP_2)
	v_add_co_u32 v4, vcc_lo, v2, s8
	v_add_co_ci_u32_e32 v5, vcc_lo, s4, v3, vcc_lo
	v_mul_f64 v[36:37], v[52:53], s[0:1]
	v_mul_f64 v[38:39], v[54:55], s[0:1]
	s_delay_alu instid0(VALU_DEP_4) | instskip(NEXT) | instid1(VALU_DEP_4)
	v_add_co_u32 v6, vcc_lo, v4, s6
	v_add_co_ci_u32_e32 v7, vcc_lo, s10, v5, vcc_lo
	global_store_b128 v[44:45], v[8:11], off
	v_add_co_u32 v8, vcc_lo, v6, s8
	v_add_co_ci_u32_e32 v9, vcc_lo, s4, v7, vcc_lo
	global_store_b128 v[46:47], v[12:15], off
	s_waitcnt vmcnt(0) lgkmcnt(0)
	v_mul_f64 v[98:99], v[138:139], v[18:19]
	v_mul_f64 v[100:101], v[138:139], v[16:17]
	s_delay_alu instid0(VALU_DEP_2) | instskip(NEXT) | instid1(VALU_DEP_2)
	v_fma_f64 v[60:61], v[136:137], v[16:17], v[98:99]
	v_fma_f64 v[62:63], v[136:137], v[18:19], -v[100:101]
	v_mul_f64 v[16:17], v[56:57], s[0:1]
	v_mul_f64 v[18:19], v[58:59], s[0:1]
	s_delay_alu instid0(VALU_DEP_4) | instskip(NEXT) | instid1(VALU_DEP_4)
	v_mul_f64 v[40:41], v[60:61], s[0:1]
	v_mul_f64 v[42:43], v[62:63], s[0:1]
	global_store_b128 v[48:49], v[16:19], off
	global_store_b128 v[0:1], v[20:23], off
	v_add_co_u32 v0, vcc_lo, v8, s6
	v_add_co_ci_u32_e32 v1, vcc_lo, s10, v9, vcc_lo
	global_store_b128 v[2:3], v[24:27], off
	global_store_b128 v[4:5], v[28:31], off
	;; [unrolled: 1-line block ×5, first 2 shown]
.LBB0_26:
	s_nop 0
	s_sendmsg sendmsg(MSG_DEALLOC_VGPRS)
	s_endpgm
	.section	.rodata,"a",@progbits
	.p2align	6, 0x0
	.amdhsa_kernel bluestein_single_fwd_len1260_dim1_dp_op_CI_CI
		.amdhsa_group_segment_fixed_size 20160
		.amdhsa_private_segment_fixed_size 980
		.amdhsa_kernarg_size 104
		.amdhsa_user_sgpr_count 15
		.amdhsa_user_sgpr_dispatch_ptr 0
		.amdhsa_user_sgpr_queue_ptr 0
		.amdhsa_user_sgpr_kernarg_segment_ptr 1
		.amdhsa_user_sgpr_dispatch_id 0
		.amdhsa_user_sgpr_private_segment_size 0
		.amdhsa_wavefront_size32 1
		.amdhsa_uses_dynamic_stack 0
		.amdhsa_enable_private_segment 1
		.amdhsa_system_sgpr_workgroup_id_x 1
		.amdhsa_system_sgpr_workgroup_id_y 0
		.amdhsa_system_sgpr_workgroup_id_z 0
		.amdhsa_system_sgpr_workgroup_info 0
		.amdhsa_system_vgpr_workitem_id 0
		.amdhsa_next_free_vgpr 256
		.amdhsa_next_free_sgpr 30
		.amdhsa_reserve_vcc 1
		.amdhsa_float_round_mode_32 0
		.amdhsa_float_round_mode_16_64 0
		.amdhsa_float_denorm_mode_32 3
		.amdhsa_float_denorm_mode_16_64 3
		.amdhsa_dx10_clamp 1
		.amdhsa_ieee_mode 1
		.amdhsa_fp16_overflow 0
		.amdhsa_workgroup_processor_mode 1
		.amdhsa_memory_ordered 1
		.amdhsa_forward_progress 0
		.amdhsa_shared_vgpr_count 0
		.amdhsa_exception_fp_ieee_invalid_op 0
		.amdhsa_exception_fp_denorm_src 0
		.amdhsa_exception_fp_ieee_div_zero 0
		.amdhsa_exception_fp_ieee_overflow 0
		.amdhsa_exception_fp_ieee_underflow 0
		.amdhsa_exception_fp_ieee_inexact 0
		.amdhsa_exception_int_div_zero 0
	.end_amdhsa_kernel
	.text
.Lfunc_end0:
	.size	bluestein_single_fwd_len1260_dim1_dp_op_CI_CI, .Lfunc_end0-bluestein_single_fwd_len1260_dim1_dp_op_CI_CI
                                        ; -- End function
	.section	.AMDGPU.csdata,"",@progbits
; Kernel info:
; codeLenInByte = 32360
; NumSgprs: 32
; NumVgprs: 256
; ScratchSize: 980
; MemoryBound: 0
; FloatMode: 240
; IeeeMode: 1
; LDSByteSize: 20160 bytes/workgroup (compile time only)
; SGPRBlocks: 3
; VGPRBlocks: 31
; NumSGPRsForWavesPerEU: 32
; NumVGPRsForWavesPerEU: 256
; Occupancy: 3
; WaveLimiterHint : 1
; COMPUTE_PGM_RSRC2:SCRATCH_EN: 1
; COMPUTE_PGM_RSRC2:USER_SGPR: 15
; COMPUTE_PGM_RSRC2:TRAP_HANDLER: 0
; COMPUTE_PGM_RSRC2:TGID_X_EN: 1
; COMPUTE_PGM_RSRC2:TGID_Y_EN: 0
; COMPUTE_PGM_RSRC2:TGID_Z_EN: 0
; COMPUTE_PGM_RSRC2:TIDIG_COMP_CNT: 0
	.text
	.p2alignl 7, 3214868480
	.fill 96, 4, 3214868480
	.type	__hip_cuid_7688e410cd341f7f,@object ; @__hip_cuid_7688e410cd341f7f
	.section	.bss,"aw",@nobits
	.globl	__hip_cuid_7688e410cd341f7f
__hip_cuid_7688e410cd341f7f:
	.byte	0                               ; 0x0
	.size	__hip_cuid_7688e410cd341f7f, 1

	.ident	"AMD clang version 19.0.0git (https://github.com/RadeonOpenCompute/llvm-project roc-6.4.0 25133 c7fe45cf4b819c5991fe208aaa96edf142730f1d)"
	.section	".note.GNU-stack","",@progbits
	.addrsig
	.addrsig_sym __hip_cuid_7688e410cd341f7f
	.amdgpu_metadata
---
amdhsa.kernels:
  - .args:
      - .actual_access:  read_only
        .address_space:  global
        .offset:         0
        .size:           8
        .value_kind:     global_buffer
      - .actual_access:  read_only
        .address_space:  global
        .offset:         8
        .size:           8
        .value_kind:     global_buffer
      - .actual_access:  read_only
        .address_space:  global
        .offset:         16
        .size:           8
        .value_kind:     global_buffer
      - .actual_access:  read_only
        .address_space:  global
        .offset:         24
        .size:           8
        .value_kind:     global_buffer
      - .actual_access:  read_only
        .address_space:  global
        .offset:         32
        .size:           8
        .value_kind:     global_buffer
      - .offset:         40
        .size:           8
        .value_kind:     by_value
      - .address_space:  global
        .offset:         48
        .size:           8
        .value_kind:     global_buffer
      - .address_space:  global
        .offset:         56
        .size:           8
        .value_kind:     global_buffer
      - .address_space:  global
        .offset:         64
        .size:           8
        .value_kind:     global_buffer
      - .address_space:  global
        .offset:         72
        .size:           8
        .value_kind:     global_buffer
      - .offset:         80
        .size:           4
        .value_kind:     by_value
      - .address_space:  global
        .offset:         88
        .size:           8
        .value_kind:     global_buffer
      - .address_space:  global
        .offset:         96
        .size:           8
        .value_kind:     global_buffer
    .group_segment_fixed_size: 20160
    .kernarg_segment_align: 8
    .kernarg_segment_size: 104
    .language:       OpenCL C
    .language_version:
      - 2
      - 0
    .max_flat_workgroup_size: 63
    .name:           bluestein_single_fwd_len1260_dim1_dp_op_CI_CI
    .private_segment_fixed_size: 980
    .sgpr_count:     32
    .sgpr_spill_count: 0
    .symbol:         bluestein_single_fwd_len1260_dim1_dp_op_CI_CI.kd
    .uniform_work_group_size: 1
    .uses_dynamic_stack: false
    .vgpr_count:     256
    .vgpr_spill_count: 244
    .wavefront_size: 32
    .workgroup_processor_mode: 1
amdhsa.target:   amdgcn-amd-amdhsa--gfx1100
amdhsa.version:
  - 1
  - 2
...

	.end_amdgpu_metadata
